;; amdgpu-corpus repo=pytorch/pytorch kind=compiled arch=gfx950 opt=O3
	.amdgcn_target "amdgcn-amd-amdhsa--gfx950"
	.amdhsa_code_object_version 6
	.text
	.p2align	2                               ; -- Begin function _ZN2at6native25elementwise_kernel_helperILb0EZZZNS0_12_GLOBAL__N_130modified_bessel_i1_kernel_cudaERNS_18TensorIteratorBaseEENKUlvE_clEvENKUlvE_clEvEUldE_NS0_6memory8policies11unroll_baseILi256ESt5arrayIPcLm2EE23TrivialOffsetCalculatorILi1EjESF_NS8_15LoadWithoutCastENS8_16StoreWithoutCastELi4ELi1EEEEEvT0_T1_
	.type	_ZN2at6native25elementwise_kernel_helperILb0EZZZNS0_12_GLOBAL__N_130modified_bessel_i1_kernel_cudaERNS_18TensorIteratorBaseEENKUlvE_clEvENKUlvE_clEvEUldE_NS0_6memory8policies11unroll_baseILi256ESt5arrayIPcLm2EE23TrivialOffsetCalculatorILi1EjESF_NS8_15LoadWithoutCastENS8_16StoreWithoutCastELi4ELi1EEEEEvT0_T1_,@function
_ZN2at6native25elementwise_kernel_helperILb0EZZZNS0_12_GLOBAL__N_130modified_bessel_i1_kernel_cudaERNS_18TensorIteratorBaseEENKUlvE_clEvENKUlvE_clEvEUldE_NS0_6memory8policies11unroll_baseILi256ESt5arrayIPcLm2EE23TrivialOffsetCalculatorILi1EjESF_NS8_15LoadWithoutCastENS8_16StoreWithoutCastELi4ELi1EEEEEvT0_T1_: ; @_ZN2at6native25elementwise_kernel_helperILb0EZZZNS0_12_GLOBAL__N_130modified_bessel_i1_kernel_cudaERNS_18TensorIteratorBaseEENKUlvE_clEvENKUlvE_clEvEUldE_NS0_6memory8policies11unroll_baseILi256ESt5arrayIPcLm2EE23TrivialOffsetCalculatorILi1EjESF_NS8_15LoadWithoutCastENS8_16StoreWithoutCastELi4ELi1EEEEEvT0_T1_
; %bb.0:
	s_waitcnt vmcnt(0) expcnt(0) lgkmcnt(0)
	v_and_b32_e32 v5, 0x3ff, v31
	s_lshl_b32 s8, s12, 10
	v_cmp_lt_i32_e64 s[0:1], v5, v4
	v_mov_b64_e32 v[18:19], 0
	v_or_b32_e32 v6, s8, v5
	v_mov_b64_e32 v[20:21], 0
	v_mov_b32_e32 v7, v5
	s_and_saveexec_b64 s[2:3], s[0:1]
	s_cbranch_execz .LBB0_2
; %bb.1:
	v_mov_b32_e32 v7, 0
	v_lshl_add_u64 v[8:9], v[6:7], 3, v[2:3]
	flat_load_dwordx2 v[20:21], v[8:9]
	v_add_u32_e32 v7, 0x100, v5
.LBB0_2:
	s_or_b64 exec, exec, s[2:3]
	v_cmp_lt_i32_e32 vcc, v7, v4
	s_and_saveexec_b64 s[2:3], vcc
	s_cbranch_execz .LBB0_4
; %bb.3:
	v_add_u32_e32 v8, s8, v7
	v_mov_b32_e32 v9, 0
	v_lshl_add_u64 v[8:9], v[8:9], 3, v[2:3]
	flat_load_dwordx2 v[18:19], v[8:9]
	v_add_u32_e32 v7, 0x100, v7
.LBB0_4:
	s_or_b64 exec, exec, s[2:3]
	v_cmp_lt_i32_e32 vcc, v7, v4
	v_mov_b64_e32 v[8:9], 0
	v_mov_b64_e32 v[10:11], 0
	s_and_saveexec_b64 s[2:3], vcc
	s_cbranch_execz .LBB0_6
; %bb.5:
	v_add_u32_e32 v10, s8, v7
	v_mov_b32_e32 v11, 0
	v_lshl_add_u64 v[10:11], v[10:11], 3, v[2:3]
	flat_load_dwordx2 v[10:11], v[10:11]
	v_add_u32_e32 v7, 0x100, v7
.LBB0_6:
	s_or_b64 exec, exec, s[2:3]
	v_cmp_lt_i32_e32 vcc, v7, v4
	s_and_saveexec_b64 s[2:3], vcc
	s_cbranch_execz .LBB0_8
; %bb.7:
	v_add_u32_e32 v8, s8, v7
	v_mov_b32_e32 v9, 0
	v_lshl_add_u64 v[2:3], v[8:9], 3, v[2:3]
	flat_load_dwordx2 v[8:9], v[2:3]
.LBB0_8:
	s_or_b64 exec, exec, s[2:3]
	v_mov_b32_e32 v2, 0
	v_mov_b32_e32 v3, v2
	;; [unrolled: 1-line block ×8, first 2 shown]
	s_and_saveexec_b64 s[4:5], s[0:1]
	s_cbranch_execz .LBB0_22
; %bb.9:
	s_mov_b32 s2, 0
	s_mov_b32 s3, 0x40200000
	s_waitcnt vmcnt(0) lgkmcnt(0)
	v_cmp_le_f64_e64 s[2:3], |v[20:21]|, s[2:3]
                                        ; implicit-def: $vgpr2_vgpr3
	s_and_saveexec_b64 s[6:7], s[2:3]
	s_xor_b64 s[2:3], exec, s[6:7]
	s_cbranch_execz .LBB0_15
; %bb.10:
	s_mov_b32 s6, 0xc3c4014
	v_fma_f64 v[2:3], |v[20:21]|, 0.5, -2.0
	v_mov_b32_e32 v12, 0xc38a0576
	v_mov_b32_e32 v13, 0xbc7857d0
	s_mov_b32 s7, 0x3c499f2a
	v_fmac_f64_e32 v[12:13], s[6:7], v[2:3]
	v_mov_b32_e32 v14, 0xc3c4014
	v_mov_b32_e32 v15, 0xbc499f2a
	s_mov_b32 s6, 0xe593bfac
	v_fmac_f64_e32 v[14:15], v[2:3], v[12:13]
	s_mov_b32 s7, 0x3ca663e3
	v_add_f64 v[14:15], v[14:15], s[6:7]
	s_mov_b32 s6, 0x7e0d1573
	v_fma_f64 v[12:13], v[2:3], v[14:15], -v[12:13]
	s_mov_b32 s7, 0xbcd3eaaa
	v_add_f64 v[12:13], v[12:13], s[6:7]
	s_mov_b32 s6, 0x615290c
	v_fma_f64 v[14:15], v[2:3], v[12:13], -v[14:15]
	;; [unrolled: 4-line block ×26, first 2 shown]
	s_mov_b32 s7, 0x3fd02a63
	v_add_f64 v[2:3], v[2:3], s[6:7]
	v_add_f64 v[2:3], v[2:3], -v[14:15]
	s_mov_b32 s6, 0x652b82fe
	v_mul_f64 v[2:3], v[2:3], 0.5
	s_mov_b32 s7, 0x3ff71547
	v_mul_f64 v[12:13], |v[20:21]|, v[2:3]
	v_mul_f64 v[2:3], |v[20:21]|, s[6:7]
	s_mov_b32 s6, 0xfefa39ef
	v_rndne_f64_e32 v[2:3], v[2:3]
	s_mov_b32 s7, 0xbfe62e42
	v_fma_f64 v[14:15], v[2:3], s[6:7], |v[20:21]|
	s_mov_b32 s6, 0x3b39803f
	s_mov_b32 s7, 0xbc7abc9e
	v_fmac_f64_e32 v[14:15], s[6:7], v[2:3]
	s_mov_b32 s6, 0x6a5dcb37
	v_mov_b32_e32 v16, 0xfca7ab0c
	v_mov_b32_e32 v17, 0x3e928af3
	s_mov_b32 s7, 0x3e5ade15
	v_fmac_f64_e32 v[16:17], s[6:7], v[14:15]
	v_mov_b32_e32 v22, 0x623fde64
	v_mov_b32_e32 v23, 0x3ec71dee
	v_fmac_f64_e32 v[22:23], v[14:15], v[16:17]
	v_mov_b32_e32 v16, 0x7c89e6b0
	v_mov_b32_e32 v17, 0x3efa0199
	;; [unrolled: 3-line block ×8, first 2 shown]
	v_fmac_f64_e32 v[16:17], v[14:15], v[22:23]
	v_fma_f64 v[16:17], v[14:15], v[16:17], 1.0
	v_cmp_ngt_f64_e32 vcc, 0, v[20:21]
	v_fma_f64 v[14:15], v[14:15], v[16:17], 1.0
	v_cvt_i32_f64_e32 v7, v[2:3]
                                        ; implicit-def: $vgpr2_vgpr3
	s_and_saveexec_b64 s[6:7], vcc
	s_xor_b64 s[6:7], exec, s[6:7]
; %bb.11:
	s_mov_b32 s10, 0
	s_mov_b32 s11, 0x40900000
	v_ldexp_f64 v[2:3], v[14:15], v7
	v_mov_b32_e32 v7, 0x7ff00000
	v_cmp_ngt_f64_e64 vcc, |v[20:21]|, s[10:11]
                                        ; implicit-def: $vgpr14_vgpr15
                                        ; implicit-def: $vgpr20_vgpr21
	s_nop 1
	v_cndmask_b32_e32 v3, v7, v3, vcc
	v_cndmask_b32_e32 v2, 0, v2, vcc
	v_mul_f64 v[2:3], v[2:3], v[12:13]
                                        ; implicit-def: $vgpr7
                                        ; implicit-def: $vgpr12_vgpr13
; %bb.12:
	s_andn2_saveexec_b64 s[6:7], s[6:7]
; %bb.13:
	s_mov_b32 s10, 0
	s_mov_b32 s11, 0x40900000
	v_ldexp_f64 v[2:3], -v[14:15], v7
	v_mov_b32_e32 v7, 0xfff00000
	v_cmp_ngt_f64_e64 vcc, |v[20:21]|, s[10:11]
	s_nop 1
	v_cndmask_b32_e32 v3, v7, v3, vcc
	v_cndmask_b32_e32 v2, 0, v2, vcc
	v_mul_f64 v[2:3], v[2:3], v[12:13]
; %bb.14:
	s_or_b64 exec, exec, s[6:7]
                                        ; implicit-def: $vgpr20_vgpr21
.LBB0_15:
	s_andn2_saveexec_b64 s[6:7], s[2:3]
	s_cbranch_execz .LBB0_21
; %bb.16:
	s_mov_b32 s2, 0
	v_and_b32_e32 v3, 0x7fffffff, v21
	v_mov_b32_e32 v2, v20
	s_mov_b32 s3, 0x40400000
	v_div_scale_f64 v[12:13], s[10:11], v[2:3], v[2:3], s[2:3]
	v_rcp_f64_e32 v[14:15], v[12:13]
	v_div_scale_f64 v[2:3], vcc, s[2:3], v[2:3], s[2:3]
	v_mov_b32_e32 v22, 0xfca7ab0c
	v_fma_f64 v[16:17], -v[12:13], v[14:15], 1.0
	v_fmac_f64_e32 v[14:15], v[14:15], v[16:17]
	v_fma_f64 v[16:17], -v[12:13], v[14:15], 1.0
	v_fmac_f64_e32 v[14:15], v[14:15], v[16:17]
	v_mul_f64 v[16:17], v[2:3], v[14:15]
	v_fma_f64 v[2:3], -v[12:13], v[16:17], v[2:3]
	v_div_fmas_f64 v[2:3], v[2:3], v[14:15], v[16:17]
	v_div_fixup_f64 v[2:3], v[2:3], |v[20:21]|, s[2:3]
	s_mov_b32 s2, 0xb352e8e6
	v_add_f64 v[2:3], v[2:3], -2.0
	v_mov_b32_e32 v12, 0xea87b950
	v_mov_b32_e32 v13, 0x3c545b8a
	s_mov_b32 s3, 0x3c61556d
	v_fmac_f64_e32 v[12:13], s[2:3], v[2:3]
	v_mov_b32_e32 v14, 0xb352e8e6
	v_mov_b32_e32 v15, 0xbc61556d
	s_mov_b32 s2, 0xb2532277
	v_fmac_f64_e32 v[14:15], v[2:3], v[12:13]
	s_mov_b32 s3, 0xbc8acea3
	v_add_f64 v[14:15], v[14:15], s[2:3]
	s_mov_b32 s2, 0x9c773320
	v_fma_f64 v[12:13], v[2:3], v[14:15], -v[12:13]
	s_mov_b32 s3, 0xbc82806c
	v_add_f64 v[12:13], v[12:13], s[2:3]
	s_mov_b32 s2, 0xfceb588a
	v_fma_f64 v[14:15], v[2:3], v[12:13], -v[14:15]
	;; [unrolled: 4-line block ×22, first 2 shown]
	s_mov_b32 s3, 0x3fe8ea18
	v_add_f64 v[2:3], v[2:3], s[2:3]
	s_mov_b32 s2, 0x652b82fe
	s_mov_b32 s3, 0x3ff71547
	v_mul_f64 v[12:13], |v[20:21]|, s[2:3]
	s_mov_b32 s2, 0xfefa39ef
	v_rndne_f64_e32 v[12:13], v[12:13]
	s_mov_b32 s3, 0xbfe62e42
	v_fma_f64 v[16:17], v[12:13], s[2:3], |v[20:21]|
	s_mov_b32 s2, 0x3b39803f
	s_mov_b32 s3, 0xbc7abc9e
	v_fmac_f64_e32 v[16:17], s[2:3], v[12:13]
	s_mov_b32 s2, 0x6a5dcb37
	v_mov_b32_e32 v23, 0x3e928af3
	s_mov_b32 s3, 0x3e5ade15
	v_fmac_f64_e32 v[22:23], s[2:3], v[16:17]
	v_mov_b32_e32 v24, 0x623fde64
	v_mov_b32_e32 v25, 0x3ec71dee
	v_fmac_f64_e32 v[24:25], v[16:17], v[22:23]
	v_mov_b32_e32 v22, 0x7c89e6b0
	v_mov_b32_e32 v23, 0x3efa0199
	;; [unrolled: 3-line block ×8, first 2 shown]
	v_fmac_f64_e32 v[22:23], v[16:17], v[24:25]
	v_fma_f64 v[22:23], v[16:17], v[22:23], 1.0
	s_mov_b32 s2, 0
	v_fma_f64 v[16:17], v[16:17], v[22:23], 1.0
	v_cvt_i32_f64_e32 v7, v[12:13]
	s_mov_b32 s3, 0x40900000
	v_ldexp_f64 v[12:13], v[16:17], v7
	v_mov_b32_e32 v7, 0x7ff00000
	v_cmp_ngt_f64_e64 s[2:3], |v[20:21]|, s[2:3]
	v_cmp_ngt_f64_e32 vcc, 0, v[20:21]
	v_add_f64 v[14:15], v[2:3], -v[14:15]
	v_cndmask_b32_e64 v13, v7, v13, s[2:3]
	v_cndmask_b32_e64 v12, 0, v12, s[2:3]
                                        ; implicit-def: $vgpr2_vgpr3
	s_and_saveexec_b64 s[2:3], vcc
	s_xor_b64 s[2:3], exec, s[2:3]
	s_cbranch_execz .LBB0_18
; %bb.17:
	s_mov_b32 s10, 0
	s_brev_b32 s11, 8
	v_mov_b32_e32 v2, 0x100
	v_cmp_lt_f64_e64 vcc, |v[20:21]|, s[10:11]
	v_mul_f64 v[14:15], v[14:15], 0.5
	v_mul_f64 v[12:13], v[12:13], v[14:15]
	v_cndmask_b32_e32 v2, 0, v2, vcc
	v_ldexp_f64 v[2:3], |v[20:21]|, v2
	v_rsq_f64_e32 v[16:17], v[2:3]
	v_mov_b32_e32 v7, 0xffffff80
	v_cndmask_b32_e32 v7, 0, v7, vcc
	v_mul_f64 v[14:15], v[2:3], v[16:17]
	v_mul_f64 v[16:17], v[16:17], 0.5
	v_fma_f64 v[20:21], -v[16:17], v[14:15], 0.5
	v_fmac_f64_e32 v[14:15], v[14:15], v[20:21]
	v_fma_f64 v[22:23], -v[14:15], v[14:15], v[2:3]
	v_fmac_f64_e32 v[16:17], v[16:17], v[20:21]
	v_fmac_f64_e32 v[14:15], v[22:23], v[16:17]
	v_fma_f64 v[20:21], -v[14:15], v[14:15], v[2:3]
	v_fmac_f64_e32 v[14:15], v[20:21], v[16:17]
	v_ldexp_f64 v[14:15], v[14:15], v7
	v_mov_b32_e32 v7, 0x260
	v_cmp_class_f64_e32 vcc, v[2:3], v7
	s_nop 1
	v_cndmask_b32_e32 v3, v15, v3, vcc
	v_cndmask_b32_e32 v2, v14, v2, vcc
	v_div_scale_f64 v[14:15], s[10:11], v[2:3], v[2:3], v[12:13]
	v_rcp_f64_e32 v[16:17], v[14:15]
	s_nop 0
	v_fma_f64 v[20:21], -v[14:15], v[16:17], 1.0
	v_fmac_f64_e32 v[16:17], v[16:17], v[20:21]
	v_fma_f64 v[20:21], -v[14:15], v[16:17], 1.0
	v_fmac_f64_e32 v[16:17], v[16:17], v[20:21]
	v_div_scale_f64 v[20:21], vcc, v[12:13], v[2:3], v[12:13]
	v_mul_f64 v[22:23], v[20:21], v[16:17]
	v_fma_f64 v[14:15], -v[14:15], v[22:23], v[20:21]
                                        ; implicit-def: $vgpr20_vgpr21
	s_nop 1
	v_div_fmas_f64 v[14:15], v[14:15], v[16:17], v[22:23]
	v_div_fixup_f64 v[2:3], v[14:15], v[2:3], v[12:13]
                                        ; implicit-def: $vgpr14_vgpr15
                                        ; implicit-def: $vgpr12_vgpr13
.LBB0_18:
	s_andn2_saveexec_b64 s[2:3], s[2:3]
	s_cbranch_execz .LBB0_20
; %bb.19:
	s_mov_b32 s10, 0
	s_brev_b32 s11, 8
	v_mov_b32_e32 v2, 0x100
	v_cmp_lt_f64_e64 vcc, |v[20:21]|, s[10:11]
	v_mov_b32_e32 v7, 0xffffff80
	v_mul_f64 v[14:15], v[14:15], -0.5
	v_cndmask_b32_e32 v2, 0, v2, vcc
	v_ldexp_f64 v[2:3], |v[20:21]|, v2
	v_rsq_f64_e32 v[16:17], v[2:3]
	v_cndmask_b32_e32 v7, 0, v7, vcc
	v_mul_f64 v[12:13], v[12:13], v[14:15]
	v_mul_f64 v[20:21], v[2:3], v[16:17]
	v_mul_f64 v[16:17], v[16:17], 0.5
	v_fma_f64 v[22:23], -v[16:17], v[20:21], 0.5
	v_fmac_f64_e32 v[20:21], v[20:21], v[22:23]
	v_fma_f64 v[24:25], -v[20:21], v[20:21], v[2:3]
	v_fmac_f64_e32 v[16:17], v[16:17], v[22:23]
	v_fmac_f64_e32 v[20:21], v[24:25], v[16:17]
	v_fma_f64 v[22:23], -v[20:21], v[20:21], v[2:3]
	v_fmac_f64_e32 v[20:21], v[22:23], v[16:17]
	v_ldexp_f64 v[16:17], v[20:21], v7
	v_mov_b32_e32 v7, 0x260
	v_cmp_class_f64_e32 vcc, v[2:3], v7
	s_nop 1
	v_cndmask_b32_e32 v3, v17, v3, vcc
	v_cndmask_b32_e32 v2, v16, v2, vcc
	v_div_scale_f64 v[14:15], s[10:11], v[2:3], v[2:3], v[12:13]
	v_rcp_f64_e32 v[16:17], v[14:15]
	s_nop 0
	v_fma_f64 v[20:21], -v[14:15], v[16:17], 1.0
	v_fmac_f64_e32 v[16:17], v[16:17], v[20:21]
	v_fma_f64 v[20:21], -v[14:15], v[16:17], 1.0
	v_fmac_f64_e32 v[16:17], v[16:17], v[20:21]
	v_div_scale_f64 v[20:21], vcc, v[12:13], v[2:3], v[12:13]
	v_mul_f64 v[22:23], v[20:21], v[16:17]
	v_fma_f64 v[14:15], -v[14:15], v[22:23], v[20:21]
	s_nop 1
	v_div_fmas_f64 v[14:15], v[14:15], v[16:17], v[22:23]
	v_div_fixup_f64 v[2:3], v[14:15], v[2:3], v[12:13]
.LBB0_20:
	s_or_b64 exec, exec, s[2:3]
.LBB0_21:
	s_or_b64 exec, exec, s[6:7]
	v_mov_b32_e32 v16, 0
	v_mov_b32_e32 v17, v16
	;; [unrolled: 1-line block ×6, first 2 shown]
.LBB0_22:
	s_or_b64 exec, exec, s[4:5]
	v_add_u32_e32 v24, 0x100, v5
	v_cmp_lt_i32_e32 vcc, v24, v4
	s_and_saveexec_b64 s[4:5], vcc
	s_cbranch_execz .LBB0_36
; %bb.23:
	s_mov_b32 s2, 0
	s_mov_b32 s3, 0x40200000
	s_waitcnt vmcnt(0) lgkmcnt(0)
	v_cmp_le_f64_e64 s[2:3], |v[18:19]|, s[2:3]
	s_and_saveexec_b64 s[6:7], s[2:3]
	s_xor_b64 s[2:3], exec, s[6:7]
                                        ; implicit-def: $vgpr16_vgpr17
	s_cbranch_execz .LBB0_29
; %bb.24:
	s_mov_b32 s6, 0xc3c4014
	v_fma_f64 v[16:17], |v[18:19]|, 0.5, -2.0
	v_mov_b32_e32 v20, 0xc38a0576
	v_mov_b32_e32 v21, 0xbc7857d0
	s_mov_b32 s7, 0x3c499f2a
	v_fmac_f64_e32 v[20:21], s[6:7], v[16:17]
	v_mov_b32_e32 v22, 0xc3c4014
	v_mov_b32_e32 v23, 0xbc499f2a
	s_mov_b32 s6, 0xe593bfac
	v_fmac_f64_e32 v[22:23], v[16:17], v[20:21]
	s_mov_b32 s7, 0x3ca663e3
	v_add_f64 v[22:23], v[22:23], s[6:7]
	s_mov_b32 s6, 0x7e0d1573
	v_fma_f64 v[20:21], v[16:17], v[22:23], -v[20:21]
	s_mov_b32 s7, 0xbcd3eaaa
	v_add_f64 v[20:21], v[20:21], s[6:7]
	s_mov_b32 s6, 0x615290c
	v_fma_f64 v[22:23], v[16:17], v[20:21], -v[22:23]
	;; [unrolled: 4-line block ×26, first 2 shown]
	s_mov_b32 s7, 0x3fd02a63
	v_add_f64 v[16:17], v[16:17], s[6:7]
	v_add_f64 v[16:17], v[16:17], -v[22:23]
	s_mov_b32 s6, 0x652b82fe
	v_mul_f64 v[16:17], v[16:17], 0.5
	s_mov_b32 s7, 0x3ff71547
	v_mul_f64 v[20:21], |v[18:19]|, v[16:17]
	v_mul_f64 v[16:17], |v[18:19]|, s[6:7]
	s_mov_b32 s6, 0xfefa39ef
	v_rndne_f64_e32 v[16:17], v[16:17]
	s_mov_b32 s7, 0xbfe62e42
	v_fma_f64 v[22:23], v[16:17], s[6:7], |v[18:19]|
	s_mov_b32 s6, 0x3b39803f
	s_mov_b32 s7, 0xbc7abc9e
	v_fmac_f64_e32 v[22:23], s[6:7], v[16:17]
	s_mov_b32 s6, 0x6a5dcb37
	v_mov_b32_e32 v26, 0xfca7ab0c
	v_mov_b32_e32 v27, 0x3e928af3
	s_mov_b32 s7, 0x3e5ade15
	v_fmac_f64_e32 v[26:27], s[6:7], v[22:23]
	v_mov_b32_e32 v28, 0x623fde64
	v_mov_b32_e32 v29, 0x3ec71dee
	v_fmac_f64_e32 v[28:29], v[22:23], v[26:27]
	v_mov_b32_e32 v26, 0x7c89e6b0
	v_mov_b32_e32 v27, 0x3efa0199
	;; [unrolled: 3-line block ×8, first 2 shown]
	v_fmac_f64_e32 v[26:27], v[22:23], v[28:29]
	v_fma_f64 v[26:27], v[22:23], v[26:27], 1.0
	v_cmp_ngt_f64_e32 vcc, 0, v[18:19]
	v_fma_f64 v[22:23], v[22:23], v[26:27], 1.0
	v_cvt_i32_f64_e32 v7, v[16:17]
	s_and_saveexec_b64 s[6:7], vcc
	s_xor_b64 s[6:7], exec, s[6:7]
                                        ; implicit-def: $vgpr16_vgpr17
; %bb.25:
	s_mov_b32 s10, 0
	s_mov_b32 s11, 0x40900000
	v_ldexp_f64 v[16:17], v[22:23], v7
	v_mov_b32_e32 v7, 0x7ff00000
	v_cmp_ngt_f64_e64 vcc, |v[18:19]|, s[10:11]
                                        ; implicit-def: $vgpr22_vgpr23
                                        ; implicit-def: $vgpr18_vgpr19
	s_nop 1
	v_cndmask_b32_e32 v17, v7, v17, vcc
	v_cndmask_b32_e32 v16, 0, v16, vcc
	v_mul_f64 v[16:17], v[16:17], v[20:21]
                                        ; implicit-def: $vgpr7
                                        ; implicit-def: $vgpr20_vgpr21
; %bb.26:
	s_andn2_saveexec_b64 s[6:7], s[6:7]
; %bb.27:
	s_mov_b32 s10, 0
	s_mov_b32 s11, 0x40900000
	v_ldexp_f64 v[16:17], -v[22:23], v7
	v_mov_b32_e32 v7, 0xfff00000
	v_cmp_ngt_f64_e64 vcc, |v[18:19]|, s[10:11]
	s_nop 1
	v_cndmask_b32_e32 v17, v7, v17, vcc
	v_cndmask_b32_e32 v16, 0, v16, vcc
	v_mul_f64 v[16:17], v[16:17], v[20:21]
; %bb.28:
	s_or_b64 exec, exec, s[6:7]
                                        ; implicit-def: $vgpr18_vgpr19
.LBB0_29:
	s_andn2_saveexec_b64 s[6:7], s[2:3]
	s_cbranch_execz .LBB0_35
; %bb.30:
	s_mov_b32 s2, 0
	v_and_b32_e32 v17, 0x7fffffff, v19
	v_mov_b32_e32 v16, v18
	s_mov_b32 s3, 0x40400000
	v_div_scale_f64 v[20:21], s[10:11], v[16:17], v[16:17], s[2:3]
	v_rcp_f64_e32 v[22:23], v[20:21]
	v_div_scale_f64 v[16:17], vcc, s[2:3], v[16:17], s[2:3]
	v_mov_b32_e32 v28, 0xfca7ab0c
	v_fma_f64 v[26:27], -v[20:21], v[22:23], 1.0
	v_fmac_f64_e32 v[22:23], v[22:23], v[26:27]
	v_fma_f64 v[26:27], -v[20:21], v[22:23], 1.0
	v_fmac_f64_e32 v[22:23], v[22:23], v[26:27]
	v_mul_f64 v[26:27], v[16:17], v[22:23]
	v_fma_f64 v[16:17], -v[20:21], v[26:27], v[16:17]
	v_div_fmas_f64 v[16:17], v[16:17], v[22:23], v[26:27]
	v_div_fixup_f64 v[16:17], v[16:17], |v[18:19]|, s[2:3]
	s_mov_b32 s2, 0xb352e8e6
	v_add_f64 v[16:17], v[16:17], -2.0
	v_mov_b32_e32 v20, 0xea87b950
	v_mov_b32_e32 v21, 0x3c545b8a
	s_mov_b32 s3, 0x3c61556d
	v_fmac_f64_e32 v[20:21], s[2:3], v[16:17]
	v_mov_b32_e32 v22, 0xb352e8e6
	v_mov_b32_e32 v23, 0xbc61556d
	s_mov_b32 s2, 0xb2532277
	v_fmac_f64_e32 v[22:23], v[16:17], v[20:21]
	s_mov_b32 s3, 0xbc8acea3
	v_add_f64 v[22:23], v[22:23], s[2:3]
	s_mov_b32 s2, 0x9c773320
	v_fma_f64 v[20:21], v[16:17], v[22:23], -v[20:21]
	s_mov_b32 s3, 0xbc82806c
	v_add_f64 v[20:21], v[20:21], s[2:3]
	s_mov_b32 s2, 0xfceb588a
	v_fma_f64 v[22:23], v[16:17], v[20:21], -v[22:23]
	;; [unrolled: 4-line block ×22, first 2 shown]
	s_mov_b32 s3, 0x3fe8ea18
	v_add_f64 v[16:17], v[16:17], s[2:3]
	s_mov_b32 s2, 0x652b82fe
	s_mov_b32 s3, 0x3ff71547
	v_mul_f64 v[20:21], |v[18:19]|, s[2:3]
	s_mov_b32 s2, 0xfefa39ef
	v_rndne_f64_e32 v[20:21], v[20:21]
	s_mov_b32 s3, 0xbfe62e42
	v_fma_f64 v[26:27], v[20:21], s[2:3], |v[18:19]|
	s_mov_b32 s2, 0x3b39803f
	s_mov_b32 s3, 0xbc7abc9e
	v_fmac_f64_e32 v[26:27], s[2:3], v[20:21]
	s_mov_b32 s2, 0x6a5dcb37
	v_mov_b32_e32 v29, 0x3e928af3
	s_mov_b32 s3, 0x3e5ade15
	v_fmac_f64_e32 v[28:29], s[2:3], v[26:27]
	v_mov_b32_e32 v30, 0x623fde64
	v_mov_b32_e32 v31, 0x3ec71dee
	v_fmac_f64_e32 v[30:31], v[26:27], v[28:29]
	v_mov_b32_e32 v28, 0x7c89e6b0
	v_mov_b32_e32 v29, 0x3efa0199
	;; [unrolled: 3-line block ×8, first 2 shown]
	v_fmac_f64_e32 v[28:29], v[26:27], v[30:31]
	v_fma_f64 v[28:29], v[26:27], v[28:29], 1.0
	s_mov_b32 s2, 0
	v_fma_f64 v[26:27], v[26:27], v[28:29], 1.0
	v_cvt_i32_f64_e32 v7, v[20:21]
	s_mov_b32 s3, 0x40900000
	v_ldexp_f64 v[20:21], v[26:27], v7
	v_mov_b32_e32 v7, 0x7ff00000
	v_cmp_ngt_f64_e64 s[2:3], |v[18:19]|, s[2:3]
	v_cmp_ngt_f64_e32 vcc, 0, v[18:19]
	v_add_f64 v[22:23], v[16:17], -v[22:23]
	v_cndmask_b32_e64 v21, v7, v21, s[2:3]
	v_cndmask_b32_e64 v20, 0, v20, s[2:3]
	s_and_saveexec_b64 s[2:3], vcc
	s_xor_b64 s[2:3], exec, s[2:3]
                                        ; implicit-def: $vgpr16_vgpr17
	s_cbranch_execz .LBB0_32
; %bb.31:
	s_mov_b32 s10, 0
	s_brev_b32 s11, 8
	v_mov_b32_e32 v7, 0x100
	v_cmp_lt_f64_e64 vcc, |v[18:19]|, s[10:11]
	v_mul_f64 v[22:23], v[22:23], 0.5
	v_mul_f64 v[20:21], v[20:21], v[22:23]
	v_cndmask_b32_e32 v7, 0, v7, vcc
	v_ldexp_f64 v[16:17], |v[18:19]|, v7
	v_rsq_f64_e32 v[18:19], v[16:17]
	v_mov_b32_e32 v7, 0xffffff80
	v_cndmask_b32_e32 v7, 0, v7, vcc
	v_mul_f64 v[22:23], v[16:17], v[18:19]
	v_mul_f64 v[18:19], v[18:19], 0.5
	v_fma_f64 v[26:27], -v[18:19], v[22:23], 0.5
	v_fmac_f64_e32 v[22:23], v[22:23], v[26:27]
	v_fma_f64 v[28:29], -v[22:23], v[22:23], v[16:17]
	v_fmac_f64_e32 v[18:19], v[18:19], v[26:27]
	v_fmac_f64_e32 v[22:23], v[28:29], v[18:19]
	v_fma_f64 v[26:27], -v[22:23], v[22:23], v[16:17]
	v_fmac_f64_e32 v[22:23], v[26:27], v[18:19]
	v_ldexp_f64 v[18:19], v[22:23], v7
	v_mov_b32_e32 v7, 0x260
	v_cmp_class_f64_e32 vcc, v[16:17], v7
	s_nop 1
	v_cndmask_b32_e32 v17, v19, v17, vcc
	v_cndmask_b32_e32 v16, v18, v16, vcc
	v_div_scale_f64 v[18:19], s[10:11], v[16:17], v[16:17], v[20:21]
	v_rcp_f64_e32 v[22:23], v[18:19]
	s_nop 0
	v_fma_f64 v[26:27], -v[18:19], v[22:23], 1.0
	v_fmac_f64_e32 v[22:23], v[22:23], v[26:27]
	v_fma_f64 v[26:27], -v[18:19], v[22:23], 1.0
	v_fmac_f64_e32 v[22:23], v[22:23], v[26:27]
	v_div_scale_f64 v[26:27], vcc, v[20:21], v[16:17], v[20:21]
	v_mul_f64 v[28:29], v[26:27], v[22:23]
	v_fma_f64 v[18:19], -v[18:19], v[28:29], v[26:27]
	s_nop 1
	v_div_fmas_f64 v[18:19], v[18:19], v[22:23], v[28:29]
	v_div_fixup_f64 v[16:17], v[18:19], v[16:17], v[20:21]
                                        ; implicit-def: $vgpr18_vgpr19
                                        ; implicit-def: $vgpr22_vgpr23
                                        ; implicit-def: $vgpr20_vgpr21
.LBB0_32:
	s_andn2_saveexec_b64 s[2:3], s[2:3]
	s_cbranch_execz .LBB0_34
; %bb.33:
	s_mov_b32 s10, 0
	s_brev_b32 s11, 8
	v_mov_b32_e32 v7, 0x100
	v_cmp_lt_f64_e64 vcc, |v[18:19]|, s[10:11]
	s_nop 1
	v_cndmask_b32_e32 v7, 0, v7, vcc
	v_ldexp_f64 v[16:17], |v[18:19]|, v7
	v_rsq_f64_e32 v[18:19], v[16:17]
	v_mov_b32_e32 v7, 0xffffff80
	v_cndmask_b32_e32 v7, 0, v7, vcc
	v_mul_f64 v[26:27], v[16:17], v[18:19]
	v_mul_f64 v[18:19], v[18:19], 0.5
	v_fma_f64 v[28:29], -v[18:19], v[26:27], 0.5
	v_fmac_f64_e32 v[26:27], v[26:27], v[28:29]
	v_fma_f64 v[30:31], -v[26:27], v[26:27], v[16:17]
	v_fmac_f64_e32 v[18:19], v[18:19], v[28:29]
	v_fmac_f64_e32 v[26:27], v[30:31], v[18:19]
	v_fma_f64 v[28:29], -v[26:27], v[26:27], v[16:17]
	v_fmac_f64_e32 v[26:27], v[28:29], v[18:19]
	v_ldexp_f64 v[18:19], v[26:27], v7
	v_mov_b32_e32 v7, 0x260
	v_cmp_class_f64_e32 vcc, v[16:17], v7
	s_nop 1
	v_cndmask_b32_e32 v17, v19, v17, vcc
	v_cndmask_b32_e32 v16, v18, v16, vcc
	v_mul_f64 v[18:19], v[22:23], -0.5
	v_mul_f64 v[18:19], v[20:21], v[18:19]
	v_div_scale_f64 v[20:21], s[10:11], v[16:17], v[16:17], v[18:19]
	v_rcp_f64_e32 v[22:23], v[20:21]
	s_nop 0
	v_fma_f64 v[26:27], -v[20:21], v[22:23], 1.0
	v_fmac_f64_e32 v[22:23], v[22:23], v[26:27]
	v_fma_f64 v[26:27], -v[20:21], v[22:23], 1.0
	v_fmac_f64_e32 v[22:23], v[22:23], v[26:27]
	v_div_scale_f64 v[26:27], vcc, v[18:19], v[16:17], v[18:19]
	v_mul_f64 v[28:29], v[26:27], v[22:23]
	v_fma_f64 v[20:21], -v[20:21], v[28:29], v[26:27]
	s_nop 1
	v_div_fmas_f64 v[20:21], v[20:21], v[22:23], v[28:29]
	v_div_fixup_f64 v[16:17], v[20:21], v[16:17], v[18:19]
.LBB0_34:
	s_or_b64 exec, exec, s[2:3]
.LBB0_35:
	s_or_b64 exec, exec, s[6:7]
.LBB0_36:
	s_or_b64 exec, exec, s[4:5]
	v_add_u32_e32 v7, 0x200, v5
	v_cmp_lt_i32_e32 vcc, v7, v4
	s_and_saveexec_b64 s[4:5], vcc
	s_cbranch_execz .LBB0_50
; %bb.37:
	s_mov_b32 s2, 0
	s_mov_b32 s3, 0x40200000
	s_waitcnt vmcnt(0) lgkmcnt(0)
	v_cmp_le_f64_e64 s[2:3], |v[10:11]|, s[2:3]
	s_and_saveexec_b64 s[6:7], s[2:3]
	s_xor_b64 s[2:3], exec, s[6:7]
                                        ; implicit-def: $vgpr14_vgpr15
	s_cbranch_execz .LBB0_43
; %bb.38:
	s_mov_b32 s6, 0xc3c4014
	v_fma_f64 v[14:15], |v[10:11]|, 0.5, -2.0
	v_mov_b32_e32 v18, 0xc38a0576
	v_mov_b32_e32 v19, 0xbc7857d0
	s_mov_b32 s7, 0x3c499f2a
	v_fmac_f64_e32 v[18:19], s[6:7], v[14:15]
	v_mov_b32_e32 v20, 0xc3c4014
	v_mov_b32_e32 v21, 0xbc499f2a
	s_mov_b32 s6, 0xe593bfac
	v_fmac_f64_e32 v[20:21], v[14:15], v[18:19]
	s_mov_b32 s7, 0x3ca663e3
	v_add_f64 v[20:21], v[20:21], s[6:7]
	s_mov_b32 s6, 0x7e0d1573
	v_fma_f64 v[18:19], v[14:15], v[20:21], -v[18:19]
	s_mov_b32 s7, 0xbcd3eaaa
	v_add_f64 v[18:19], v[18:19], s[6:7]
	s_mov_b32 s6, 0x615290c
	v_fma_f64 v[20:21], v[14:15], v[18:19], -v[20:21]
	;; [unrolled: 4-line block ×26, first 2 shown]
	s_mov_b32 s7, 0x3fd02a63
	v_add_f64 v[14:15], v[14:15], s[6:7]
	v_add_f64 v[14:15], v[14:15], -v[20:21]
	s_mov_b32 s6, 0x652b82fe
	v_mul_f64 v[14:15], v[14:15], 0.5
	s_mov_b32 s7, 0x3ff71547
	v_mul_f64 v[18:19], |v[10:11]|, v[14:15]
	v_mul_f64 v[14:15], |v[10:11]|, s[6:7]
	s_mov_b32 s6, 0xfefa39ef
	v_rndne_f64_e32 v[14:15], v[14:15]
	s_mov_b32 s7, 0xbfe62e42
	v_fma_f64 v[20:21], v[14:15], s[6:7], |v[10:11]|
	s_mov_b32 s6, 0x3b39803f
	s_mov_b32 s7, 0xbc7abc9e
	v_fmac_f64_e32 v[20:21], s[6:7], v[14:15]
	s_mov_b32 s6, 0x6a5dcb37
	v_mov_b32_e32 v22, 0xfca7ab0c
	v_mov_b32_e32 v23, 0x3e928af3
	s_mov_b32 s7, 0x3e5ade15
	v_fmac_f64_e32 v[22:23], s[6:7], v[20:21]
	v_mov_b32_e32 v26, 0x623fde64
	v_mov_b32_e32 v27, 0x3ec71dee
	v_fmac_f64_e32 v[26:27], v[20:21], v[22:23]
	v_mov_b32_e32 v22, 0x7c89e6b0
	v_mov_b32_e32 v23, 0x3efa0199
	v_fmac_f64_e32 v[22:23], v[20:21], v[26:27]
	v_mov_b32_e32 v26, 0x14761f6e
	v_mov_b32_e32 v27, 0x3f2a01a0
	v_fmac_f64_e32 v[26:27], v[20:21], v[22:23]
	v_mov_b32_e32 v22, 0x1852b7b0
	v_mov_b32_e32 v23, 0x3f56c16c
	v_fmac_f64_e32 v[22:23], v[20:21], v[26:27]
	v_mov_b32_e32 v26, 0x11122322
	v_mov_b32_e32 v27, 0x3f811111
	v_fmac_f64_e32 v[26:27], v[20:21], v[22:23]
	v_mov_b32_e32 v22, 0x555502a1
	v_mov_b32_e32 v23, 0x3fa55555
	v_fmac_f64_e32 v[22:23], v[20:21], v[26:27]
	v_mov_b32_e32 v26, 0x55555511
	v_mov_b32_e32 v27, 0x3fc55555
	v_fmac_f64_e32 v[26:27], v[20:21], v[22:23]
	v_mov_b32_e32 v22, 11
	v_mov_b32_e32 v23, 0x3fe00000
	v_fmac_f64_e32 v[22:23], v[20:21], v[26:27]
	v_fma_f64 v[22:23], v[20:21], v[22:23], 1.0
	v_cmp_ngt_f64_e32 vcc, 0, v[10:11]
	v_fma_f64 v[20:21], v[20:21], v[22:23], 1.0
	v_cvt_i32_f64_e32 v7, v[14:15]
	s_and_saveexec_b64 s[6:7], vcc
	s_xor_b64 s[6:7], exec, s[6:7]
                                        ; implicit-def: $vgpr14_vgpr15
; %bb.39:
	s_mov_b32 s10, 0
	s_mov_b32 s11, 0x40900000
	v_ldexp_f64 v[14:15], v[20:21], v7
	v_mov_b32_e32 v7, 0x7ff00000
	v_cmp_ngt_f64_e64 vcc, |v[10:11]|, s[10:11]
                                        ; implicit-def: $vgpr20_vgpr21
	s_nop 1
	v_cndmask_b32_e32 v11, v7, v15, vcc
	v_cndmask_b32_e32 v10, 0, v14, vcc
	v_mul_f64 v[14:15], v[10:11], v[18:19]
                                        ; implicit-def: $vgpr7
                                        ; implicit-def: $vgpr10_vgpr11
                                        ; implicit-def: $vgpr18_vgpr19
; %bb.40:
	s_andn2_saveexec_b64 s[6:7], s[6:7]
; %bb.41:
	s_mov_b32 s10, 0
	s_mov_b32 s11, 0x40900000
	v_ldexp_f64 v[14:15], -v[20:21], v7
	v_mov_b32_e32 v7, 0xfff00000
	v_cmp_ngt_f64_e64 vcc, |v[10:11]|, s[10:11]
	s_nop 1
	v_cndmask_b32_e32 v11, v7, v15, vcc
	v_cndmask_b32_e32 v10, 0, v14, vcc
	v_mul_f64 v[14:15], v[10:11], v[18:19]
; %bb.42:
	s_or_b64 exec, exec, s[6:7]
                                        ; implicit-def: $vgpr10_vgpr11
.LBB0_43:
	s_andn2_saveexec_b64 s[6:7], s[2:3]
	s_cbranch_execz .LBB0_49
; %bb.44:
	s_mov_b32 s2, 0
	v_and_b32_e32 v15, 0x7fffffff, v11
	v_mov_b32_e32 v14, v10
	s_mov_b32 s3, 0x40400000
	v_div_scale_f64 v[18:19], s[10:11], v[14:15], v[14:15], s[2:3]
	v_rcp_f64_e32 v[20:21], v[18:19]
	v_div_scale_f64 v[14:15], vcc, s[2:3], v[14:15], s[2:3]
	v_mov_b32_e32 v26, 0xfca7ab0c
	v_fma_f64 v[22:23], -v[18:19], v[20:21], 1.0
	v_fmac_f64_e32 v[20:21], v[20:21], v[22:23]
	v_fma_f64 v[22:23], -v[18:19], v[20:21], 1.0
	v_fmac_f64_e32 v[20:21], v[20:21], v[22:23]
	v_mul_f64 v[22:23], v[14:15], v[20:21]
	v_fma_f64 v[14:15], -v[18:19], v[22:23], v[14:15]
	v_div_fmas_f64 v[14:15], v[14:15], v[20:21], v[22:23]
	v_div_fixup_f64 v[14:15], v[14:15], |v[10:11]|, s[2:3]
	s_mov_b32 s2, 0xb352e8e6
	v_add_f64 v[14:15], v[14:15], -2.0
	v_mov_b32_e32 v18, 0xea87b950
	v_mov_b32_e32 v19, 0x3c545b8a
	s_mov_b32 s3, 0x3c61556d
	v_fmac_f64_e32 v[18:19], s[2:3], v[14:15]
	v_mov_b32_e32 v20, 0xb352e8e6
	v_mov_b32_e32 v21, 0xbc61556d
	s_mov_b32 s2, 0xb2532277
	v_fmac_f64_e32 v[20:21], v[14:15], v[18:19]
	s_mov_b32 s3, 0xbc8acea3
	v_add_f64 v[20:21], v[20:21], s[2:3]
	s_mov_b32 s2, 0x9c773320
	v_fma_f64 v[18:19], v[14:15], v[20:21], -v[18:19]
	s_mov_b32 s3, 0xbc82806c
	v_add_f64 v[18:19], v[18:19], s[2:3]
	s_mov_b32 s2, 0xfceb588a
	v_fma_f64 v[20:21], v[14:15], v[18:19], -v[20:21]
	;; [unrolled: 4-line block ×22, first 2 shown]
	s_mov_b32 s3, 0x3fe8ea18
	v_add_f64 v[14:15], v[14:15], s[2:3]
	s_mov_b32 s2, 0x652b82fe
	s_mov_b32 s3, 0x3ff71547
	v_mul_f64 v[18:19], |v[10:11]|, s[2:3]
	s_mov_b32 s2, 0xfefa39ef
	v_rndne_f64_e32 v[18:19], v[18:19]
	s_mov_b32 s3, 0xbfe62e42
	v_fma_f64 v[22:23], v[18:19], s[2:3], |v[10:11]|
	s_mov_b32 s2, 0x3b39803f
	s_mov_b32 s3, 0xbc7abc9e
	v_fmac_f64_e32 v[22:23], s[2:3], v[18:19]
	s_mov_b32 s2, 0x6a5dcb37
	v_mov_b32_e32 v27, 0x3e928af3
	s_mov_b32 s3, 0x3e5ade15
	v_fmac_f64_e32 v[26:27], s[2:3], v[22:23]
	v_mov_b32_e32 v28, 0x623fde64
	v_mov_b32_e32 v29, 0x3ec71dee
	v_fmac_f64_e32 v[28:29], v[22:23], v[26:27]
	v_mov_b32_e32 v26, 0x7c89e6b0
	v_mov_b32_e32 v27, 0x3efa0199
	;; [unrolled: 3-line block ×8, first 2 shown]
	v_fmac_f64_e32 v[26:27], v[22:23], v[28:29]
	v_fma_f64 v[26:27], v[22:23], v[26:27], 1.0
	s_mov_b32 s2, 0
	v_fma_f64 v[22:23], v[22:23], v[26:27], 1.0
	v_cvt_i32_f64_e32 v7, v[18:19]
	s_mov_b32 s3, 0x40900000
	v_ldexp_f64 v[18:19], v[22:23], v7
	v_mov_b32_e32 v7, 0x7ff00000
	v_cmp_ngt_f64_e64 s[2:3], |v[10:11]|, s[2:3]
	v_cmp_ngt_f64_e32 vcc, 0, v[10:11]
	v_add_f64 v[20:21], v[14:15], -v[20:21]
	v_cndmask_b32_e64 v19, v7, v19, s[2:3]
	v_cndmask_b32_e64 v18, 0, v18, s[2:3]
	s_and_saveexec_b64 s[2:3], vcc
	s_xor_b64 s[2:3], exec, s[2:3]
                                        ; implicit-def: $vgpr14_vgpr15
	s_cbranch_execz .LBB0_46
; %bb.45:
	s_mov_b32 s10, 0
	s_brev_b32 s11, 8
	v_mov_b32_e32 v7, 0x100
	v_cmp_lt_f64_e64 vcc, |v[10:11]|, s[10:11]
	v_mul_f64 v[20:21], v[20:21], 0.5
	v_mul_f64 v[18:19], v[18:19], v[20:21]
	v_cndmask_b32_e32 v7, 0, v7, vcc
	v_ldexp_f64 v[10:11], |v[10:11]|, v7
	v_rsq_f64_e32 v[14:15], v[10:11]
	v_mov_b32_e32 v7, 0xffffff80
	v_cndmask_b32_e32 v7, 0, v7, vcc
	v_mul_f64 v[20:21], v[10:11], v[14:15]
	v_mul_f64 v[14:15], v[14:15], 0.5
	v_fma_f64 v[22:23], -v[14:15], v[20:21], 0.5
	v_fmac_f64_e32 v[20:21], v[20:21], v[22:23]
	v_fma_f64 v[26:27], -v[20:21], v[20:21], v[10:11]
	v_fmac_f64_e32 v[14:15], v[14:15], v[22:23]
	v_fmac_f64_e32 v[20:21], v[26:27], v[14:15]
	v_fma_f64 v[22:23], -v[20:21], v[20:21], v[10:11]
	v_fmac_f64_e32 v[20:21], v[22:23], v[14:15]
	v_ldexp_f64 v[14:15], v[20:21], v7
	v_mov_b32_e32 v7, 0x260
	v_cmp_class_f64_e32 vcc, v[10:11], v7
	s_nop 1
	v_cndmask_b32_e32 v11, v15, v11, vcc
	v_cndmask_b32_e32 v10, v14, v10, vcc
	v_div_scale_f64 v[14:15], s[10:11], v[10:11], v[10:11], v[18:19]
	v_rcp_f64_e32 v[20:21], v[14:15]
	s_nop 0
	v_fma_f64 v[22:23], -v[14:15], v[20:21], 1.0
	v_fmac_f64_e32 v[20:21], v[20:21], v[22:23]
	v_fma_f64 v[22:23], -v[14:15], v[20:21], 1.0
	v_fmac_f64_e32 v[20:21], v[20:21], v[22:23]
	v_div_scale_f64 v[22:23], vcc, v[18:19], v[10:11], v[18:19]
	v_mul_f64 v[26:27], v[22:23], v[20:21]
	v_fma_f64 v[14:15], -v[14:15], v[26:27], v[22:23]
	s_nop 1
	v_div_fmas_f64 v[14:15], v[14:15], v[20:21], v[26:27]
	v_div_fixup_f64 v[14:15], v[14:15], v[10:11], v[18:19]
                                        ; implicit-def: $vgpr10_vgpr11
                                        ; implicit-def: $vgpr20_vgpr21
                                        ; implicit-def: $vgpr18_vgpr19
.LBB0_46:
	s_andn2_saveexec_b64 s[2:3], s[2:3]
	s_cbranch_execz .LBB0_48
; %bb.47:
	s_mov_b32 s10, 0
	s_brev_b32 s11, 8
	v_mov_b32_e32 v7, 0x100
	v_cmp_lt_f64_e64 vcc, |v[10:11]|, s[10:11]
	s_nop 1
	v_cndmask_b32_e32 v7, 0, v7, vcc
	v_ldexp_f64 v[10:11], |v[10:11]|, v7
	v_rsq_f64_e32 v[14:15], v[10:11]
	v_mov_b32_e32 v7, 0xffffff80
	v_cndmask_b32_e32 v7, 0, v7, vcc
	v_mul_f64 v[22:23], v[10:11], v[14:15]
	v_mul_f64 v[14:15], v[14:15], 0.5
	v_fma_f64 v[26:27], -v[14:15], v[22:23], 0.5
	v_fmac_f64_e32 v[22:23], v[22:23], v[26:27]
	v_fma_f64 v[28:29], -v[22:23], v[22:23], v[10:11]
	v_fmac_f64_e32 v[14:15], v[14:15], v[26:27]
	v_fmac_f64_e32 v[22:23], v[28:29], v[14:15]
	v_fma_f64 v[26:27], -v[22:23], v[22:23], v[10:11]
	v_fmac_f64_e32 v[22:23], v[26:27], v[14:15]
	v_ldexp_f64 v[14:15], v[22:23], v7
	v_mov_b32_e32 v7, 0x260
	v_cmp_class_f64_e32 vcc, v[10:11], v7
	s_nop 1
	v_cndmask_b32_e32 v11, v15, v11, vcc
	v_cndmask_b32_e32 v10, v14, v10, vcc
	v_mul_f64 v[14:15], v[20:21], -0.5
	v_mul_f64 v[14:15], v[18:19], v[14:15]
	v_div_scale_f64 v[18:19], s[10:11], v[10:11], v[10:11], v[14:15]
	v_rcp_f64_e32 v[20:21], v[18:19]
	s_nop 0
	v_fma_f64 v[22:23], -v[18:19], v[20:21], 1.0
	v_fmac_f64_e32 v[20:21], v[20:21], v[22:23]
	v_fma_f64 v[22:23], -v[18:19], v[20:21], 1.0
	v_fmac_f64_e32 v[20:21], v[20:21], v[22:23]
	v_div_scale_f64 v[22:23], vcc, v[14:15], v[10:11], v[14:15]
	v_mul_f64 v[26:27], v[22:23], v[20:21]
	v_fma_f64 v[18:19], -v[18:19], v[26:27], v[22:23]
	s_nop 1
	v_div_fmas_f64 v[18:19], v[18:19], v[20:21], v[26:27]
	v_div_fixup_f64 v[14:15], v[18:19], v[10:11], v[14:15]
.LBB0_48:
	s_or_b64 exec, exec, s[2:3]
.LBB0_49:
	s_or_b64 exec, exec, s[6:7]
.LBB0_50:
	s_or_b64 exec, exec, s[4:5]
	v_add_u32_e32 v7, 0x300, v5
	v_cmp_lt_i32_e32 vcc, v7, v4
	s_and_saveexec_b64 s[4:5], vcc
	s_cbranch_execnz .LBB0_56
; %bb.51:
	s_or_b64 exec, exec, s[4:5]
	s_and_saveexec_b64 s[2:3], s[0:1]
	s_xor_b64 s[0:1], exec, s[2:3]
	s_cbranch_execnz .LBB0_69
.LBB0_52:
	s_or_b64 exec, exec, s[0:1]
	v_cmp_lt_i32_e32 vcc, v5, v4
	s_and_saveexec_b64 s[0:1], vcc
	s_cbranch_execnz .LBB0_70
.LBB0_53:
	s_or_b64 exec, exec, s[0:1]
	v_cmp_lt_i32_e32 vcc, v5, v4
	s_and_saveexec_b64 s[0:1], vcc
	s_cbranch_execnz .LBB0_71
.LBB0_54:
	s_or_b64 exec, exec, s[0:1]
	v_cmp_lt_i32_e32 vcc, v5, v4
	s_and_saveexec_b64 s[0:1], vcc
	s_cbranch_execnz .LBB0_72
.LBB0_55:
	s_or_b64 exec, exec, s[0:1]
	s_waitcnt vmcnt(0) lgkmcnt(0)
	s_setpc_b64 s[30:31]
.LBB0_56:
	s_mov_b32 s2, 0
	s_mov_b32 s3, 0x40200000
	s_waitcnt vmcnt(0) lgkmcnt(0)
	v_cmp_le_f64_e64 s[2:3], |v[8:9]|, s[2:3]
	s_and_saveexec_b64 s[6:7], s[2:3]
	s_xor_b64 s[2:3], exec, s[6:7]
                                        ; implicit-def: $vgpr12_vgpr13
	s_cbranch_execz .LBB0_62
; %bb.57:
	s_mov_b32 s6, 0xc3c4014
	v_fma_f64 v[10:11], |v[8:9]|, 0.5, -2.0
	v_mov_b32_e32 v12, 0xc38a0576
	v_mov_b32_e32 v13, 0xbc7857d0
	s_mov_b32 s7, 0x3c499f2a
	v_fmac_f64_e32 v[12:13], s[6:7], v[10:11]
	v_mov_b32_e32 v18, 0xc3c4014
	v_mov_b32_e32 v19, 0xbc499f2a
	s_mov_b32 s6, 0xe593bfac
	v_fmac_f64_e32 v[18:19], v[10:11], v[12:13]
	s_mov_b32 s7, 0x3ca663e3
	v_add_f64 v[18:19], v[18:19], s[6:7]
	s_mov_b32 s6, 0x7e0d1573
	v_fma_f64 v[12:13], v[10:11], v[18:19], -v[12:13]
	s_mov_b32 s7, 0xbcd3eaaa
	v_add_f64 v[12:13], v[12:13], s[6:7]
	s_mov_b32 s6, 0x615290c
	v_fma_f64 v[18:19], v[10:11], v[12:13], -v[18:19]
	s_mov_b32 s7, 0x3d011d7f
	v_add_f64 v[18:19], v[18:19], s[6:7]
	s_mov_b32 s6, 0x1c8f0b3b
	v_fma_f64 v[12:13], v[10:11], v[18:19], -v[12:13]
	s_mov_b32 s7, 0xbd2c628e
	v_add_f64 v[12:13], v[12:13], s[6:7]
	s_mov_b32 s6, 0x4779d955
	v_fma_f64 v[18:19], v[10:11], v[12:13], -v[18:19]
	s_mov_b32 s7, 0x3d56af78
	v_add_f64 v[18:19], v[18:19], s[6:7]
	s_mov_b32 s6, 0x5fb70366
	v_fma_f64 v[12:13], v[10:11], v[18:19], -v[12:13]
	s_mov_b32 s7, 0xbd817383
	v_add_f64 v[12:13], v[12:13], s[6:7]
	s_mov_b32 s6, 0xb21d3154
	v_fma_f64 v[18:19], v[10:11], v[12:13], -v[18:19]
	s_mov_b32 s7, 0x3da9cee2
	v_add_f64 v[18:19], v[18:19], s[6:7]
	s_mov_b32 s6, 0x97eb07de
	v_fma_f64 v[12:13], v[10:11], v[18:19], -v[12:13]
	s_mov_b32 s7, 0xbdd25103
	v_add_f64 v[12:13], v[12:13], s[6:7]
	s_mov_b32 s6, 0xb43fdf6c
	v_fma_f64 v[18:19], v[10:11], v[12:13], -v[18:19]
	s_mov_b32 s7, 0x3df8ea34
	v_add_f64 v[18:19], v[18:19], s[6:7]
	s_mov_b32 s6, 0x28ea67e6
	v_fma_f64 v[12:13], v[10:11], v[18:19], -v[12:13]
	s_mov_b32 s7, 0xbe20361b
	v_add_f64 v[12:13], v[12:13], s[6:7]
	s_mov_b32 s6, 0x2395010
	v_fma_f64 v[18:19], v[10:11], v[12:13], -v[18:19]
	s_mov_b32 s7, 0x3e44258e
	v_add_f64 v[18:19], v[18:19], s[6:7]
	s_mov_b32 s6, 0x24b8c3e8
	v_fma_f64 v[12:13], v[10:11], v[18:19], -v[12:13]
	s_mov_b32 s7, 0xbe67dd3e
	v_add_f64 v[12:13], v[12:13], s[6:7]
	s_mov_b32 s6, 0xb347d108
	v_fma_f64 v[18:19], v[10:11], v[12:13], -v[18:19]
	s_mov_b32 s7, 0x3e8ae344
	v_add_f64 v[18:19], v[18:19], s[6:7]
	s_mov_b32 s6, 0x8363992a
	v_fma_f64 v[12:13], v[10:11], v[18:19], -v[12:13]
	s_mov_b32 s7, 0xbeacc079
	v_add_f64 v[12:13], v[12:13], s[6:7]
	s_mov_b32 s6, 0xd511afc5
	v_fma_f64 v[18:19], v[10:11], v[12:13], -v[18:19]
	s_mov_b32 s7, 0x3ecd1c4e
	v_add_f64 v[18:19], v[18:19], s[6:7]
	s_mov_b32 s6, 0xb8debbcf
	v_fma_f64 v[12:13], v[10:11], v[18:19], -v[12:13]
	s_mov_b32 s7, 0xbeebd5f9
	v_add_f64 v[12:13], v[12:13], s[6:7]
	s_mov_b32 s6, 0x42c70d0b
	v_fma_f64 v[18:19], v[10:11], v[12:13], -v[18:19]
	s_mov_b32 s7, 0x3f0911b5
	v_add_f64 v[18:19], v[18:19], s[6:7]
	s_mov_b32 s6, 0xd3d694fe
	v_fma_f64 v[12:13], v[10:11], v[18:19], -v[12:13]
	s_mov_b32 s7, 0xbf2533ca
	v_add_f64 v[12:13], v[12:13], s[6:7]
	s_mov_b32 s6, 0xb6c6df7d
	v_fma_f64 v[18:19], v[10:11], v[12:13], -v[18:19]
	s_mov_b32 s7, 0x3f40c95d
	v_add_f64 v[18:19], v[18:19], s[6:7]
	s_mov_b32 s6, 0xb3cd4a4
	v_fma_f64 v[12:13], v[10:11], v[18:19], -v[12:13]
	s_mov_b32 s7, 0xbf58cc62
	v_add_f64 v[12:13], v[12:13], s[6:7]
	s_mov_b32 s6, 0x49d3a1b4
	v_fma_f64 v[18:19], v[10:11], v[12:13], -v[18:19]
	s_mov_b32 s7, 0x3f710653
	v_add_f64 v[18:19], v[18:19], s[6:7]
	s_mov_b32 s6, 0x7913a26a
	v_fma_f64 v[12:13], v[10:11], v[18:19], -v[12:13]
	s_mov_b32 s7, 0xbf85a29f
	v_add_f64 v[12:13], v[12:13], s[6:7]
	s_mov_b32 s6, 0xe7bb2349
	v_fma_f64 v[18:19], v[10:11], v[12:13], -v[18:19]
	s_mov_b32 s7, 0x3f9951e3
	v_add_f64 v[18:19], v[18:19], s[6:7]
	s_mov_b32 s6, 0x537c9ebc
	v_fma_f64 v[12:13], v[10:11], v[18:19], -v[12:13]
	s_mov_b32 s7, 0xbfab1bbc
	v_add_f64 v[12:13], v[12:13], s[6:7]
	s_mov_b32 s6, 0xd536f53c
	v_fma_f64 v[18:19], v[10:11], v[12:13], -v[18:19]
	s_mov_b32 s7, 0x3fba46da
	v_add_f64 v[18:19], v[18:19], s[6:7]
	s_mov_b32 s6, 0x469192e
	v_fma_f64 v[12:13], v[10:11], v[18:19], -v[12:13]
	s_mov_b32 s7, 0xbfc694d1
	v_add_f64 v[12:13], v[12:13], s[6:7]
	s_mov_b32 s6, 0x724a7ffa
	v_fma_f64 v[10:11], v[10:11], v[12:13], -v[18:19]
	s_mov_b32 s7, 0x3fd02a63
	v_add_f64 v[10:11], v[10:11], s[6:7]
	s_mov_b32 s6, 0x652b82fe
	s_mov_b32 s7, 0x3ff71547
	v_mul_f64 v[12:13], |v[8:9]|, s[6:7]
	s_mov_b32 s6, 0xfefa39ef
	v_rndne_f64_e32 v[12:13], v[12:13]
	s_mov_b32 s7, 0xbfe62e42
	v_add_f64 v[10:11], v[10:11], -v[18:19]
	v_fma_f64 v[18:19], v[12:13], s[6:7], |v[8:9]|
	s_mov_b32 s6, 0x3b39803f
	s_mov_b32 s7, 0xbc7abc9e
	v_fmac_f64_e32 v[18:19], s[6:7], v[12:13]
	s_mov_b32 s6, 0x6a5dcb37
	v_mov_b32_e32 v20, 0xfca7ab0c
	v_mov_b32_e32 v21, 0x3e928af3
	s_mov_b32 s7, 0x3e5ade15
	v_fmac_f64_e32 v[20:21], s[6:7], v[18:19]
	v_mov_b32_e32 v22, 0x623fde64
	v_mov_b32_e32 v23, 0x3ec71dee
	v_fmac_f64_e32 v[22:23], v[18:19], v[20:21]
	v_mov_b32_e32 v20, 0x7c89e6b0
	v_mov_b32_e32 v21, 0x3efa0199
	;; [unrolled: 3-line block ×8, first 2 shown]
	v_fmac_f64_e32 v[20:21], v[18:19], v[22:23]
	v_mul_f64 v[10:11], v[10:11], 0.5
	v_fma_f64 v[20:21], v[18:19], v[20:21], 1.0
	v_cmp_ngt_f64_e32 vcc, 0, v[8:9]
	v_mul_f64 v[10:11], |v[8:9]|, v[10:11]
	v_fma_f64 v[18:19], v[18:19], v[20:21], 1.0
	v_cvt_i32_f64_e32 v7, v[12:13]
	s_and_saveexec_b64 s[6:7], vcc
	s_xor_b64 s[6:7], exec, s[6:7]
                                        ; implicit-def: $vgpr12_vgpr13
; %bb.58:
	s_mov_b32 s10, 0
	s_mov_b32 s11, 0x40900000
	v_ldexp_f64 v[12:13], v[18:19], v7
	v_mov_b32_e32 v7, 0x7ff00000
	v_cmp_ngt_f64_e64 vcc, |v[8:9]|, s[10:11]
                                        ; implicit-def: $vgpr18_vgpr19
	s_nop 1
	v_cndmask_b32_e32 v9, v7, v13, vcc
	v_cndmask_b32_e32 v8, 0, v12, vcc
	v_mul_f64 v[12:13], v[8:9], v[10:11]
                                        ; implicit-def: $vgpr7
                                        ; implicit-def: $vgpr8_vgpr9
                                        ; implicit-def: $vgpr10_vgpr11
; %bb.59:
	s_andn2_saveexec_b64 s[6:7], s[6:7]
; %bb.60:
	s_mov_b32 s10, 0
	s_mov_b32 s11, 0x40900000
	v_ldexp_f64 v[12:13], -v[18:19], v7
	v_mov_b32_e32 v7, 0xfff00000
	v_cmp_ngt_f64_e64 vcc, |v[8:9]|, s[10:11]
	s_nop 1
	v_cndmask_b32_e32 v9, v7, v13, vcc
	v_cndmask_b32_e32 v8, 0, v12, vcc
	v_mul_f64 v[12:13], v[8:9], v[10:11]
; %bb.61:
	s_or_b64 exec, exec, s[6:7]
                                        ; implicit-def: $vgpr8_vgpr9
.LBB0_62:
	s_andn2_saveexec_b64 s[6:7], s[2:3]
	s_cbranch_execz .LBB0_68
; %bb.63:
	s_mov_b32 s2, 0
	v_and_b32_e32 v11, 0x7fffffff, v9
	v_mov_b32_e32 v10, v8
	s_mov_b32 s3, 0x40400000
	v_div_scale_f64 v[12:13], s[10:11], v[10:11], v[10:11], s[2:3]
	v_rcp_f64_e32 v[18:19], v[12:13]
	v_div_scale_f64 v[10:11], vcc, s[2:3], v[10:11], s[2:3]
	v_mov_b32_e32 v22, 0xfca7ab0c
	v_fma_f64 v[20:21], -v[12:13], v[18:19], 1.0
	v_fmac_f64_e32 v[18:19], v[18:19], v[20:21]
	v_fma_f64 v[20:21], -v[12:13], v[18:19], 1.0
	v_fmac_f64_e32 v[18:19], v[18:19], v[20:21]
	v_mul_f64 v[20:21], v[10:11], v[18:19]
	v_fma_f64 v[10:11], -v[12:13], v[20:21], v[10:11]
	v_div_fmas_f64 v[10:11], v[10:11], v[18:19], v[20:21]
	v_div_fixup_f64 v[10:11], v[10:11], |v[8:9]|, s[2:3]
	s_mov_b32 s2, 0xb352e8e6
	v_add_f64 v[10:11], v[10:11], -2.0
	v_mov_b32_e32 v12, 0xea87b950
	v_mov_b32_e32 v13, 0x3c545b8a
	s_mov_b32 s3, 0x3c61556d
	v_fmac_f64_e32 v[12:13], s[2:3], v[10:11]
	v_mov_b32_e32 v18, 0xb352e8e6
	v_mov_b32_e32 v19, 0xbc61556d
	s_mov_b32 s2, 0xb2532277
	v_fmac_f64_e32 v[18:19], v[10:11], v[12:13]
	s_mov_b32 s3, 0xbc8acea3
	v_add_f64 v[18:19], v[18:19], s[2:3]
	s_mov_b32 s2, 0x9c773320
	v_fma_f64 v[12:13], v[10:11], v[18:19], -v[12:13]
	s_mov_b32 s3, 0xbc82806c
	v_add_f64 v[12:13], v[12:13], s[2:3]
	s_mov_b32 s2, 0xfceb588a
	v_fma_f64 v[18:19], v[10:11], v[12:13], -v[18:19]
	;; [unrolled: 4-line block ×22, first 2 shown]
	s_mov_b32 s3, 0x3fe8ea18
	v_add_f64 v[12:13], v[10:11], s[2:3]
	s_mov_b32 s2, 0x652b82fe
	s_mov_b32 s3, 0x3ff71547
	v_mul_f64 v[10:11], |v[8:9]|, s[2:3]
	s_mov_b32 s2, 0xfefa39ef
	v_rndne_f64_e32 v[10:11], v[10:11]
	s_mov_b32 s3, 0xbfe62e42
	v_fma_f64 v[20:21], v[10:11], s[2:3], |v[8:9]|
	s_mov_b32 s2, 0x3b39803f
	s_mov_b32 s3, 0xbc7abc9e
	v_fmac_f64_e32 v[20:21], s[2:3], v[10:11]
	s_mov_b32 s2, 0x6a5dcb37
	v_mov_b32_e32 v23, 0x3e928af3
	s_mov_b32 s3, 0x3e5ade15
	v_fmac_f64_e32 v[22:23], s[2:3], v[20:21]
	v_mov_b32_e32 v26, 0x623fde64
	v_mov_b32_e32 v27, 0x3ec71dee
	v_fmac_f64_e32 v[26:27], v[20:21], v[22:23]
	v_mov_b32_e32 v22, 0x7c89e6b0
	v_mov_b32_e32 v23, 0x3efa0199
	;; [unrolled: 3-line block ×8, first 2 shown]
	v_fmac_f64_e32 v[22:23], v[20:21], v[26:27]
	v_fma_f64 v[22:23], v[20:21], v[22:23], 1.0
	s_mov_b32 s2, 0
	v_fma_f64 v[20:21], v[20:21], v[22:23], 1.0
	v_cvt_i32_f64_e32 v7, v[10:11]
	s_mov_b32 s3, 0x40900000
	v_ldexp_f64 v[10:11], v[20:21], v7
	v_mov_b32_e32 v7, 0x7ff00000
	v_cmp_ngt_f64_e64 s[2:3], |v[8:9]|, s[2:3]
	v_cmp_ngt_f64_e32 vcc, 0, v[8:9]
	v_add_f64 v[18:19], v[12:13], -v[18:19]
	v_cndmask_b32_e64 v11, v7, v11, s[2:3]
	v_cndmask_b32_e64 v10, 0, v10, s[2:3]
	s_and_saveexec_b64 s[2:3], vcc
	s_xor_b64 s[2:3], exec, s[2:3]
                                        ; implicit-def: $vgpr12_vgpr13
	s_cbranch_execz .LBB0_65
; %bb.64:
	s_mov_b32 s10, 0
	s_brev_b32 s11, 8
	v_mov_b32_e32 v7, 0x100
	v_cmp_lt_f64_e64 vcc, |v[8:9]|, s[10:11]
	v_mul_f64 v[18:19], v[18:19], 0.5
	v_mul_f64 v[10:11], v[10:11], v[18:19]
	v_cndmask_b32_e32 v7, 0, v7, vcc
	v_ldexp_f64 v[8:9], |v[8:9]|, v7
	v_rsq_f64_e32 v[12:13], v[8:9]
	v_mov_b32_e32 v7, 0xffffff80
	v_cndmask_b32_e32 v7, 0, v7, vcc
	v_mul_f64 v[18:19], v[8:9], v[12:13]
	v_mul_f64 v[12:13], v[12:13], 0.5
	v_fma_f64 v[20:21], -v[12:13], v[18:19], 0.5
	v_fmac_f64_e32 v[18:19], v[18:19], v[20:21]
	v_fma_f64 v[22:23], -v[18:19], v[18:19], v[8:9]
	v_fmac_f64_e32 v[12:13], v[12:13], v[20:21]
	v_fmac_f64_e32 v[18:19], v[22:23], v[12:13]
	v_fma_f64 v[20:21], -v[18:19], v[18:19], v[8:9]
	v_fmac_f64_e32 v[18:19], v[20:21], v[12:13]
	v_ldexp_f64 v[12:13], v[18:19], v7
	v_mov_b32_e32 v7, 0x260
	v_cmp_class_f64_e32 vcc, v[8:9], v7
	s_nop 1
	v_cndmask_b32_e32 v9, v13, v9, vcc
	v_cndmask_b32_e32 v8, v12, v8, vcc
	v_div_scale_f64 v[12:13], s[10:11], v[8:9], v[8:9], v[10:11]
	v_rcp_f64_e32 v[18:19], v[12:13]
	s_nop 0
	v_fma_f64 v[20:21], -v[12:13], v[18:19], 1.0
	v_fmac_f64_e32 v[18:19], v[18:19], v[20:21]
	v_fma_f64 v[20:21], -v[12:13], v[18:19], 1.0
	v_fmac_f64_e32 v[18:19], v[18:19], v[20:21]
	v_div_scale_f64 v[20:21], vcc, v[10:11], v[8:9], v[10:11]
	v_mul_f64 v[22:23], v[20:21], v[18:19]
	v_fma_f64 v[12:13], -v[12:13], v[22:23], v[20:21]
	s_nop 1
	v_div_fmas_f64 v[12:13], v[12:13], v[18:19], v[22:23]
	v_div_fixup_f64 v[12:13], v[12:13], v[8:9], v[10:11]
                                        ; implicit-def: $vgpr8_vgpr9
                                        ; implicit-def: $vgpr18_vgpr19
                                        ; implicit-def: $vgpr10_vgpr11
.LBB0_65:
	s_andn2_saveexec_b64 s[2:3], s[2:3]
	s_cbranch_execz .LBB0_67
; %bb.66:
	s_mov_b32 s10, 0
	s_brev_b32 s11, 8
	v_mov_b32_e32 v7, 0x100
	v_cmp_lt_f64_e64 vcc, |v[8:9]|, s[10:11]
	s_nop 1
	v_cndmask_b32_e32 v7, 0, v7, vcc
	v_ldexp_f64 v[8:9], |v[8:9]|, v7
	v_rsq_f64_e32 v[12:13], v[8:9]
	v_mov_b32_e32 v7, 0xffffff80
	v_cndmask_b32_e32 v7, 0, v7, vcc
	v_mul_f64 v[20:21], v[8:9], v[12:13]
	v_mul_f64 v[12:13], v[12:13], 0.5
	v_fma_f64 v[22:23], -v[12:13], v[20:21], 0.5
	v_fmac_f64_e32 v[20:21], v[20:21], v[22:23]
	v_fma_f64 v[26:27], -v[20:21], v[20:21], v[8:9]
	v_fmac_f64_e32 v[12:13], v[12:13], v[22:23]
	v_fmac_f64_e32 v[20:21], v[26:27], v[12:13]
	v_fma_f64 v[22:23], -v[20:21], v[20:21], v[8:9]
	v_fmac_f64_e32 v[20:21], v[22:23], v[12:13]
	v_ldexp_f64 v[12:13], v[20:21], v7
	v_mov_b32_e32 v7, 0x260
	v_cmp_class_f64_e32 vcc, v[8:9], v7
	s_nop 1
	v_cndmask_b32_e32 v9, v13, v9, vcc
	v_cndmask_b32_e32 v8, v12, v8, vcc
	v_mul_f64 v[12:13], v[18:19], -0.5
	v_mul_f64 v[10:11], v[10:11], v[12:13]
	v_div_scale_f64 v[12:13], s[10:11], v[8:9], v[8:9], v[10:11]
	v_rcp_f64_e32 v[18:19], v[12:13]
	s_nop 0
	v_fma_f64 v[20:21], -v[12:13], v[18:19], 1.0
	v_fmac_f64_e32 v[18:19], v[18:19], v[20:21]
	v_fma_f64 v[20:21], -v[12:13], v[18:19], 1.0
	v_fmac_f64_e32 v[18:19], v[18:19], v[20:21]
	v_div_scale_f64 v[20:21], vcc, v[10:11], v[8:9], v[10:11]
	v_mul_f64 v[22:23], v[20:21], v[18:19]
	v_fma_f64 v[12:13], -v[12:13], v[22:23], v[20:21]
	s_nop 1
	v_div_fmas_f64 v[12:13], v[12:13], v[18:19], v[22:23]
	v_div_fixup_f64 v[12:13], v[12:13], v[8:9], v[10:11]
.LBB0_67:
	s_or_b64 exec, exec, s[2:3]
.LBB0_68:
	s_or_b64 exec, exec, s[6:7]
	s_or_b64 exec, exec, s[4:5]
	s_and_saveexec_b64 s[2:3], s[0:1]
	s_xor_b64 s[0:1], exec, s[2:3]
	s_cbranch_execz .LBB0_52
.LBB0_69:
	v_mov_b32_e32 v7, 0
	v_lshl_add_u64 v[6:7], v[6:7], 3, v[0:1]
	v_mov_b32_e32 v5, v24
	flat_store_dwordx2 v[6:7], v[2:3]
	s_or_b64 exec, exec, s[0:1]
	v_cmp_lt_i32_e32 vcc, v5, v4
	s_and_saveexec_b64 s[0:1], vcc
	s_cbranch_execz .LBB0_53
.LBB0_70:
	v_add_u32_e32 v2, s8, v5
	v_mov_b32_e32 v3, 0
	v_lshl_add_u64 v[2:3], v[2:3], 3, v[0:1]
	v_add_u32_e32 v5, 0x100, v5
	flat_store_dwordx2 v[2:3], v[16:17]
	s_or_b64 exec, exec, s[0:1]
	v_cmp_lt_i32_e32 vcc, v5, v4
	s_and_saveexec_b64 s[0:1], vcc
	s_cbranch_execz .LBB0_54
.LBB0_71:
	v_add_u32_e32 v2, s8, v5
	v_mov_b32_e32 v3, 0
	v_lshl_add_u64 v[2:3], v[2:3], 3, v[0:1]
	v_add_u32_e32 v5, 0x100, v5
	flat_store_dwordx2 v[2:3], v[14:15]
	s_or_b64 exec, exec, s[0:1]
	v_cmp_lt_i32_e32 vcc, v5, v4
	s_and_saveexec_b64 s[0:1], vcc
	s_cbranch_execz .LBB0_55
.LBB0_72:
	v_add_u32_e32 v2, s8, v5
	v_mov_b32_e32 v3, 0
	v_lshl_add_u64 v[0:1], v[2:3], 3, v[0:1]
	flat_store_dwordx2 v[0:1], v[12:13]
	s_or_b64 exec, exec, s[0:1]
	s_waitcnt vmcnt(0) lgkmcnt(0)
	s_setpc_b64 s[30:31]
.Lfunc_end0:
	.size	_ZN2at6native25elementwise_kernel_helperILb0EZZZNS0_12_GLOBAL__N_130modified_bessel_i1_kernel_cudaERNS_18TensorIteratorBaseEENKUlvE_clEvENKUlvE_clEvEUldE_NS0_6memory8policies11unroll_baseILi256ESt5arrayIPcLm2EE23TrivialOffsetCalculatorILi1EjESF_NS8_15LoadWithoutCastENS8_16StoreWithoutCastELi4ELi1EEEEEvT0_T1_, .Lfunc_end0-_ZN2at6native25elementwise_kernel_helperILb0EZZZNS0_12_GLOBAL__N_130modified_bessel_i1_kernel_cudaERNS_18TensorIteratorBaseEENKUlvE_clEvENKUlvE_clEvEUldE_NS0_6memory8policies11unroll_baseILi256ESt5arrayIPcLm2EE23TrivialOffsetCalculatorILi1EjESF_NS8_15LoadWithoutCastENS8_16StoreWithoutCastELi4ELi1EEEEEvT0_T1_
                                        ; -- End function
	.set .L_ZN2at6native25elementwise_kernel_helperILb0EZZZNS0_12_GLOBAL__N_130modified_bessel_i1_kernel_cudaERNS_18TensorIteratorBaseEENKUlvE_clEvENKUlvE_clEvEUldE_NS0_6memory8policies11unroll_baseILi256ESt5arrayIPcLm2EE23TrivialOffsetCalculatorILi1EjESF_NS8_15LoadWithoutCastENS8_16StoreWithoutCastELi4ELi1EEEEEvT0_T1_.num_vgpr, 32
	.set .L_ZN2at6native25elementwise_kernel_helperILb0EZZZNS0_12_GLOBAL__N_130modified_bessel_i1_kernel_cudaERNS_18TensorIteratorBaseEENKUlvE_clEvENKUlvE_clEvEUldE_NS0_6memory8policies11unroll_baseILi256ESt5arrayIPcLm2EE23TrivialOffsetCalculatorILi1EjESF_NS8_15LoadWithoutCastENS8_16StoreWithoutCastELi4ELi1EEEEEvT0_T1_.num_agpr, 0
	.set .L_ZN2at6native25elementwise_kernel_helperILb0EZZZNS0_12_GLOBAL__N_130modified_bessel_i1_kernel_cudaERNS_18TensorIteratorBaseEENKUlvE_clEvENKUlvE_clEvEUldE_NS0_6memory8policies11unroll_baseILi256ESt5arrayIPcLm2EE23TrivialOffsetCalculatorILi1EjESF_NS8_15LoadWithoutCastENS8_16StoreWithoutCastELi4ELi1EEEEEvT0_T1_.numbered_sgpr, 32
	.set .L_ZN2at6native25elementwise_kernel_helperILb0EZZZNS0_12_GLOBAL__N_130modified_bessel_i1_kernel_cudaERNS_18TensorIteratorBaseEENKUlvE_clEvENKUlvE_clEvEUldE_NS0_6memory8policies11unroll_baseILi256ESt5arrayIPcLm2EE23TrivialOffsetCalculatorILi1EjESF_NS8_15LoadWithoutCastENS8_16StoreWithoutCastELi4ELi1EEEEEvT0_T1_.num_named_barrier, 0
	.set .L_ZN2at6native25elementwise_kernel_helperILb0EZZZNS0_12_GLOBAL__N_130modified_bessel_i1_kernel_cudaERNS_18TensorIteratorBaseEENKUlvE_clEvENKUlvE_clEvEUldE_NS0_6memory8policies11unroll_baseILi256ESt5arrayIPcLm2EE23TrivialOffsetCalculatorILi1EjESF_NS8_15LoadWithoutCastENS8_16StoreWithoutCastELi4ELi1EEEEEvT0_T1_.private_seg_size, 0
	.set .L_ZN2at6native25elementwise_kernel_helperILb0EZZZNS0_12_GLOBAL__N_130modified_bessel_i1_kernel_cudaERNS_18TensorIteratorBaseEENKUlvE_clEvENKUlvE_clEvEUldE_NS0_6memory8policies11unroll_baseILi256ESt5arrayIPcLm2EE23TrivialOffsetCalculatorILi1EjESF_NS8_15LoadWithoutCastENS8_16StoreWithoutCastELi4ELi1EEEEEvT0_T1_.uses_vcc, 1
	.set .L_ZN2at6native25elementwise_kernel_helperILb0EZZZNS0_12_GLOBAL__N_130modified_bessel_i1_kernel_cudaERNS_18TensorIteratorBaseEENKUlvE_clEvENKUlvE_clEvEUldE_NS0_6memory8policies11unroll_baseILi256ESt5arrayIPcLm2EE23TrivialOffsetCalculatorILi1EjESF_NS8_15LoadWithoutCastENS8_16StoreWithoutCastELi4ELi1EEEEEvT0_T1_.uses_flat_scratch, 0
	.set .L_ZN2at6native25elementwise_kernel_helperILb0EZZZNS0_12_GLOBAL__N_130modified_bessel_i1_kernel_cudaERNS_18TensorIteratorBaseEENKUlvE_clEvENKUlvE_clEvEUldE_NS0_6memory8policies11unroll_baseILi256ESt5arrayIPcLm2EE23TrivialOffsetCalculatorILi1EjESF_NS8_15LoadWithoutCastENS8_16StoreWithoutCastELi4ELi1EEEEEvT0_T1_.has_dyn_sized_stack, 0
	.set .L_ZN2at6native25elementwise_kernel_helperILb0EZZZNS0_12_GLOBAL__N_130modified_bessel_i1_kernel_cudaERNS_18TensorIteratorBaseEENKUlvE_clEvENKUlvE_clEvEUldE_NS0_6memory8policies11unroll_baseILi256ESt5arrayIPcLm2EE23TrivialOffsetCalculatorILi1EjESF_NS8_15LoadWithoutCastENS8_16StoreWithoutCastELi4ELi1EEEEEvT0_T1_.has_recursion, 0
	.set .L_ZN2at6native25elementwise_kernel_helperILb0EZZZNS0_12_GLOBAL__N_130modified_bessel_i1_kernel_cudaERNS_18TensorIteratorBaseEENKUlvE_clEvENKUlvE_clEvEUldE_NS0_6memory8policies11unroll_baseILi256ESt5arrayIPcLm2EE23TrivialOffsetCalculatorILi1EjESF_NS8_15LoadWithoutCastENS8_16StoreWithoutCastELi4ELi1EEEEEvT0_T1_.has_indirect_call, 0
	.section	.AMDGPU.csdata,"",@progbits
; Function info:
; codeLenInByte = 13244
; TotalNumSgprs: 38
; NumVgprs: 32
; NumAgprs: 0
; TotalNumVgprs: 32
; ScratchSize: 0
; MemoryBound: 0
	.text
	.p2align	2                               ; -- Begin function _ZN2at6native25elementwise_kernel_helperILb0EZZZNS0_12_GLOBAL__N_130modified_bessel_i1_kernel_cudaERNS_18TensorIteratorBaseEENKUlvE_clEvENKUlvE_clEvEUldE_NS0_6memory8policies10vectorizedILi4ESt5arrayIPcLm2EELi4EEEEEvT0_T1_
	.type	_ZN2at6native25elementwise_kernel_helperILb0EZZZNS0_12_GLOBAL__N_130modified_bessel_i1_kernel_cudaERNS_18TensorIteratorBaseEENKUlvE_clEvENKUlvE_clEvEUldE_NS0_6memory8policies10vectorizedILi4ESt5arrayIPcLm2EELi4EEEEEvT0_T1_,@function
_ZN2at6native25elementwise_kernel_helperILb0EZZZNS0_12_GLOBAL__N_130modified_bessel_i1_kernel_cudaERNS_18TensorIteratorBaseEENKUlvE_clEvENKUlvE_clEvEUldE_NS0_6memory8policies10vectorizedILi4ESt5arrayIPcLm2EELi4EEEEEvT0_T1_: ; @_ZN2at6native25elementwise_kernel_helperILb0EZZZNS0_12_GLOBAL__N_130modified_bessel_i1_kernel_cudaERNS_18TensorIteratorBaseEENKUlvE_clEvENKUlvE_clEvEUldE_NS0_6memory8policies10vectorizedILi4ESt5arrayIPcLm2EELi4EEEEEvT0_T1_
; %bb.0:
	s_waitcnt vmcnt(0) expcnt(0) lgkmcnt(0)
	s_lshl_b32 s2, s12, 10
	s_ashr_i32 s3, s2, 31
	v_and_b32_e32 v4, 0x3ff, v31
	v_lshl_add_u64 v[2:3], s[2:3], 3, v[2:3]
	v_mov_b32_e32 v15, 0
	v_lshlrev_b32_e32 v14, 5, v4
	v_lshl_add_u64 v[6:7], v[2:3], 0, v[14:15]
	flat_load_dwordx4 v[8:11], v[6:7]
	flat_load_dwordx4 v[2:5], v[6:7] offset:16
	s_mov_b32 s0, 0
	s_mov_b32 s1, 0x40200000
                                        ; implicit-def: $vgpr6_vgpr7
	s_waitcnt vmcnt(0) lgkmcnt(0)
	v_cmp_le_f64_e64 s[0:1], |v[8:9]|, s[0:1]
	s_and_saveexec_b64 s[4:5], s[0:1]
	s_xor_b64 s[0:1], exec, s[4:5]
	s_cbranch_execz .LBB1_6
; %bb.1:
	s_mov_b32 s4, 0xc3c4014
	v_fma_f64 v[6:7], |v[8:9]|, 0.5, -2.0
	v_mov_b32_e32 v12, 0xc38a0576
	v_mov_b32_e32 v13, 0xbc7857d0
	s_mov_b32 s5, 0x3c499f2a
	v_fmac_f64_e32 v[12:13], s[4:5], v[6:7]
	v_mov_b32_e32 v16, 0xc3c4014
	v_mov_b32_e32 v17, 0xbc499f2a
	s_mov_b32 s4, 0xe593bfac
	v_fmac_f64_e32 v[16:17], v[6:7], v[12:13]
	s_mov_b32 s5, 0x3ca663e3
	v_add_f64 v[16:17], v[16:17], s[4:5]
	s_mov_b32 s4, 0x7e0d1573
	v_fma_f64 v[12:13], v[6:7], v[16:17], -v[12:13]
	s_mov_b32 s5, 0xbcd3eaaa
	v_add_f64 v[12:13], v[12:13], s[4:5]
	s_mov_b32 s4, 0x615290c
	v_fma_f64 v[16:17], v[6:7], v[12:13], -v[16:17]
	;; [unrolled: 4-line block ×26, first 2 shown]
	s_mov_b32 s5, 0x3fd02a63
	v_add_f64 v[6:7], v[6:7], s[4:5]
	v_add_f64 v[6:7], v[6:7], -v[16:17]
	s_mov_b32 s4, 0x652b82fe
	v_mul_f64 v[6:7], v[6:7], 0.5
	s_mov_b32 s5, 0x3ff71547
	v_mul_f64 v[12:13], |v[8:9]|, v[6:7]
	v_mul_f64 v[6:7], |v[8:9]|, s[4:5]
	s_mov_b32 s4, 0xfefa39ef
	v_rndne_f64_e32 v[6:7], v[6:7]
	s_mov_b32 s5, 0xbfe62e42
	v_fma_f64 v[16:17], v[6:7], s[4:5], |v[8:9]|
	s_mov_b32 s4, 0x3b39803f
	s_mov_b32 s5, 0xbc7abc9e
	v_fmac_f64_e32 v[16:17], s[4:5], v[6:7]
	s_mov_b32 s4, 0x6a5dcb37
	v_mov_b32_e32 v18, 0xfca7ab0c
	v_mov_b32_e32 v19, 0x3e928af3
	s_mov_b32 s5, 0x3e5ade15
	v_fmac_f64_e32 v[18:19], s[4:5], v[16:17]
	v_mov_b32_e32 v20, 0x623fde64
	v_mov_b32_e32 v21, 0x3ec71dee
	v_fmac_f64_e32 v[20:21], v[16:17], v[18:19]
	v_mov_b32_e32 v18, 0x7c89e6b0
	v_mov_b32_e32 v19, 0x3efa0199
	;; [unrolled: 3-line block ×8, first 2 shown]
	v_fmac_f64_e32 v[18:19], v[16:17], v[20:21]
	v_fma_f64 v[18:19], v[16:17], v[18:19], 1.0
	v_cmp_ngt_f64_e32 vcc, 0, v[8:9]
	v_fma_f64 v[16:17], v[16:17], v[18:19], 1.0
	v_cvt_i32_f64_e32 v15, v[6:7]
                                        ; implicit-def: $vgpr6_vgpr7
	s_and_saveexec_b64 s[4:5], vcc
	s_xor_b64 s[4:5], exec, s[4:5]
; %bb.2:
	s_mov_b32 s6, 0
	s_mov_b32 s7, 0x40900000
	v_ldexp_f64 v[6:7], v[16:17], v15
	v_mov_b32_e32 v15, 0x7ff00000
	v_cmp_ngt_f64_e64 vcc, |v[8:9]|, s[6:7]
                                        ; implicit-def: $vgpr16_vgpr17
	s_nop 1
	v_cndmask_b32_e32 v7, v15, v7, vcc
	v_cndmask_b32_e32 v6, 0, v6, vcc
	v_mul_f64 v[6:7], v[6:7], v[12:13]
                                        ; implicit-def: $vgpr15
                                        ; implicit-def: $vgpr12_vgpr13
; %bb.3:
	s_andn2_saveexec_b64 s[4:5], s[4:5]
; %bb.4:
	s_mov_b32 s6, 0
	s_mov_b32 s7, 0x40900000
	v_ldexp_f64 v[6:7], -v[16:17], v15
	v_mov_b32_e32 v15, 0xfff00000
	v_cmp_ngt_f64_e64 vcc, |v[8:9]|, s[6:7]
	s_nop 1
	v_cndmask_b32_e32 v7, v15, v7, vcc
	v_cndmask_b32_e32 v6, 0, v6, vcc
	v_mul_f64 v[6:7], v[6:7], v[12:13]
; %bb.5:
	s_or_b64 exec, exec, s[4:5]
.LBB1_6:
	s_andn2_saveexec_b64 s[4:5], s[0:1]
	s_cbranch_execz .LBB1_12
; %bb.7:
	s_mov_b32 s0, 0
	v_and_b32_e32 v7, 0x7fffffff, v9
	v_mov_b32_e32 v6, v8
	s_mov_b32 s1, 0x40400000
	v_div_scale_f64 v[12:13], s[6:7], v[6:7], v[6:7], s[0:1]
	v_rcp_f64_e32 v[16:17], v[12:13]
	v_div_scale_f64 v[6:7], vcc, s[0:1], v[6:7], s[0:1]
	v_mov_b32_e32 v20, 0xfca7ab0c
	v_fma_f64 v[18:19], -v[12:13], v[16:17], 1.0
	v_fmac_f64_e32 v[16:17], v[16:17], v[18:19]
	v_fma_f64 v[18:19], -v[12:13], v[16:17], 1.0
	v_fmac_f64_e32 v[16:17], v[16:17], v[18:19]
	v_mul_f64 v[18:19], v[6:7], v[16:17]
	v_fma_f64 v[6:7], -v[12:13], v[18:19], v[6:7]
	v_div_fmas_f64 v[6:7], v[6:7], v[16:17], v[18:19]
	v_div_fixup_f64 v[6:7], v[6:7], |v[8:9]|, s[0:1]
	s_mov_b32 s0, 0xb352e8e6
	v_add_f64 v[6:7], v[6:7], -2.0
	v_mov_b32_e32 v12, 0xea87b950
	v_mov_b32_e32 v13, 0x3c545b8a
	s_mov_b32 s1, 0x3c61556d
	v_fmac_f64_e32 v[12:13], s[0:1], v[6:7]
	v_mov_b32_e32 v16, 0xb352e8e6
	v_mov_b32_e32 v17, 0xbc61556d
	s_mov_b32 s0, 0xb2532277
	v_fmac_f64_e32 v[16:17], v[6:7], v[12:13]
	s_mov_b32 s1, 0xbc8acea3
	v_add_f64 v[16:17], v[16:17], s[0:1]
	s_mov_b32 s0, 0x9c773320
	v_fma_f64 v[12:13], v[6:7], v[16:17], -v[12:13]
	s_mov_b32 s1, 0xbc82806c
	v_add_f64 v[12:13], v[12:13], s[0:1]
	s_mov_b32 s0, 0xfceb588a
	v_fma_f64 v[16:17], v[6:7], v[12:13], -v[16:17]
	;; [unrolled: 4-line block ×22, first 2 shown]
	s_mov_b32 s1, 0x3fe8ea18
	v_add_f64 v[6:7], v[6:7], s[0:1]
	s_mov_b32 s0, 0x652b82fe
	s_mov_b32 s1, 0x3ff71547
	v_mul_f64 v[12:13], |v[8:9]|, s[0:1]
	s_mov_b32 s0, 0xfefa39ef
	v_rndne_f64_e32 v[12:13], v[12:13]
	s_mov_b32 s1, 0xbfe62e42
	v_fma_f64 v[18:19], v[12:13], s[0:1], |v[8:9]|
	s_mov_b32 s0, 0x3b39803f
	s_mov_b32 s1, 0xbc7abc9e
	v_fmac_f64_e32 v[18:19], s[0:1], v[12:13]
	s_mov_b32 s0, 0x6a5dcb37
	v_mov_b32_e32 v21, 0x3e928af3
	s_mov_b32 s1, 0x3e5ade15
	v_fmac_f64_e32 v[20:21], s[0:1], v[18:19]
	v_mov_b32_e32 v22, 0x623fde64
	v_mov_b32_e32 v23, 0x3ec71dee
	v_fmac_f64_e32 v[22:23], v[18:19], v[20:21]
	v_mov_b32_e32 v20, 0x7c89e6b0
	v_mov_b32_e32 v21, 0x3efa0199
	;; [unrolled: 3-line block ×8, first 2 shown]
	v_fmac_f64_e32 v[20:21], v[18:19], v[22:23]
	v_fma_f64 v[20:21], v[18:19], v[20:21], 1.0
	s_mov_b32 s0, 0
	v_fma_f64 v[18:19], v[18:19], v[20:21], 1.0
	v_cvt_i32_f64_e32 v12, v[12:13]
	s_mov_b32 s1, 0x40900000
	v_ldexp_f64 v[12:13], v[18:19], v12
	v_mov_b32_e32 v15, 0x7ff00000
	v_cmp_ngt_f64_e64 s[0:1], |v[8:9]|, s[0:1]
	v_cmp_ngt_f64_e32 vcc, 0, v[8:9]
	v_add_f64 v[16:17], v[6:7], -v[16:17]
	v_cndmask_b32_e64 v13, v15, v13, s[0:1]
	v_cndmask_b32_e64 v12, 0, v12, s[0:1]
                                        ; implicit-def: $vgpr6_vgpr7
	s_and_saveexec_b64 s[0:1], vcc
	s_xor_b64 s[0:1], exec, s[0:1]
	s_cbranch_execz .LBB1_9
; %bb.8:
	s_mov_b32 s6, 0
	s_brev_b32 s7, 8
	v_mov_b32_e32 v6, 0x100
	v_cmp_lt_f64_e64 vcc, |v[8:9]|, s[6:7]
	v_mul_f64 v[16:17], v[16:17], 0.5
	v_mul_f64 v[12:13], v[12:13], v[16:17]
	v_cndmask_b32_e32 v6, 0, v6, vcc
	v_ldexp_f64 v[6:7], |v[8:9]|, v6
	v_rsq_f64_e32 v[18:19], v[6:7]
	v_mov_b32_e32 v15, 0xffffff80
	v_cndmask_b32_e32 v15, 0, v15, vcc
	v_mul_f64 v[16:17], v[6:7], v[18:19]
	v_mul_f64 v[18:19], v[18:19], 0.5
	v_fma_f64 v[20:21], -v[18:19], v[16:17], 0.5
	v_fmac_f64_e32 v[16:17], v[16:17], v[20:21]
	v_fma_f64 v[22:23], -v[16:17], v[16:17], v[6:7]
	v_fmac_f64_e32 v[18:19], v[18:19], v[20:21]
	v_fmac_f64_e32 v[16:17], v[22:23], v[18:19]
	v_fma_f64 v[20:21], -v[16:17], v[16:17], v[6:7]
	v_fmac_f64_e32 v[16:17], v[20:21], v[18:19]
	v_ldexp_f64 v[16:17], v[16:17], v15
	v_mov_b32_e32 v15, 0x260
	v_cmp_class_f64_e32 vcc, v[6:7], v15
	s_nop 1
	v_cndmask_b32_e32 v7, v17, v7, vcc
	v_cndmask_b32_e32 v6, v16, v6, vcc
	v_div_scale_f64 v[16:17], s[6:7], v[6:7], v[6:7], v[12:13]
	v_rcp_f64_e32 v[18:19], v[16:17]
	s_nop 0
	v_fma_f64 v[20:21], -v[16:17], v[18:19], 1.0
	v_fmac_f64_e32 v[18:19], v[18:19], v[20:21]
	v_fma_f64 v[20:21], -v[16:17], v[18:19], 1.0
	v_fmac_f64_e32 v[18:19], v[18:19], v[20:21]
	v_div_scale_f64 v[20:21], vcc, v[12:13], v[6:7], v[12:13]
	v_mul_f64 v[22:23], v[20:21], v[18:19]
	v_fma_f64 v[16:17], -v[16:17], v[22:23], v[20:21]
	s_nop 1
	v_div_fmas_f64 v[16:17], v[16:17], v[18:19], v[22:23]
	v_div_fixup_f64 v[6:7], v[16:17], v[6:7], v[12:13]
                                        ; implicit-def: $vgpr16_vgpr17
                                        ; implicit-def: $vgpr12_vgpr13
.LBB1_9:
	s_andn2_saveexec_b64 s[0:1], s[0:1]
	s_cbranch_execz .LBB1_11
; %bb.10:
	s_mov_b32 s6, 0
	s_brev_b32 s7, 8
	v_mov_b32_e32 v6, 0x100
	v_cmp_lt_f64_e64 vcc, |v[8:9]|, s[6:7]
	v_mov_b32_e32 v15, 0x260
	s_nop 0
	v_cndmask_b32_e32 v6, 0, v6, vcc
	v_ldexp_f64 v[6:7], |v[8:9]|, v6
	v_rsq_f64_e32 v[8:9], v[6:7]
	s_nop 0
	v_mul_f64 v[18:19], v[6:7], v[8:9]
	v_mul_f64 v[8:9], v[8:9], 0.5
	v_fma_f64 v[20:21], -v[8:9], v[18:19], 0.5
	v_fmac_f64_e32 v[18:19], v[18:19], v[20:21]
	v_fma_f64 v[22:23], -v[18:19], v[18:19], v[6:7]
	v_fmac_f64_e32 v[8:9], v[8:9], v[20:21]
	v_fmac_f64_e32 v[18:19], v[22:23], v[8:9]
	v_fma_f64 v[20:21], -v[18:19], v[18:19], v[6:7]
	v_fmac_f64_e32 v[18:19], v[20:21], v[8:9]
	v_mov_b32_e32 v8, 0xffffff80
	v_cndmask_b32_e32 v8, 0, v8, vcc
	v_ldexp_f64 v[8:9], v[18:19], v8
	v_cmp_class_f64_e32 vcc, v[6:7], v15
	s_nop 1
	v_cndmask_b32_e32 v7, v9, v7, vcc
	v_cndmask_b32_e32 v6, v8, v6, vcc
	v_mul_f64 v[8:9], v[16:17], -0.5
	v_mul_f64 v[8:9], v[12:13], v[8:9]
	v_div_scale_f64 v[12:13], s[6:7], v[6:7], v[6:7], v[8:9]
	v_rcp_f64_e32 v[16:17], v[12:13]
	s_nop 0
	v_fma_f64 v[18:19], -v[12:13], v[16:17], 1.0
	v_fmac_f64_e32 v[16:17], v[16:17], v[18:19]
	v_fma_f64 v[18:19], -v[12:13], v[16:17], 1.0
	v_fmac_f64_e32 v[16:17], v[16:17], v[18:19]
	v_div_scale_f64 v[18:19], vcc, v[8:9], v[6:7], v[8:9]
	v_mul_f64 v[20:21], v[18:19], v[16:17]
	v_fma_f64 v[12:13], -v[12:13], v[20:21], v[18:19]
	s_nop 1
	v_div_fmas_f64 v[12:13], v[12:13], v[16:17], v[20:21]
	v_div_fixup_f64 v[6:7], v[12:13], v[6:7], v[8:9]
.LBB1_11:
	s_or_b64 exec, exec, s[0:1]
.LBB1_12:
	s_or_b64 exec, exec, s[4:5]
	s_mov_b32 s0, 0
	s_mov_b32 s1, 0x40200000
	v_cmp_le_f64_e64 s[0:1], |v[10:11]|, s[0:1]
	s_and_saveexec_b64 s[4:5], s[0:1]
	s_xor_b64 s[0:1], exec, s[4:5]
	s_cbranch_execz .LBB1_18
; %bb.13:
	s_mov_b32 s4, 0xc3c4014
	v_fma_f64 v[8:9], |v[10:11]|, 0.5, -2.0
	v_mov_b32_e32 v12, 0xc38a0576
	v_mov_b32_e32 v13, 0xbc7857d0
	s_mov_b32 s5, 0x3c499f2a
	v_fmac_f64_e32 v[12:13], s[4:5], v[8:9]
	v_mov_b32_e32 v16, 0xc3c4014
	v_mov_b32_e32 v17, 0xbc499f2a
	s_mov_b32 s4, 0xe593bfac
	v_fmac_f64_e32 v[16:17], v[8:9], v[12:13]
	s_mov_b32 s5, 0x3ca663e3
	v_add_f64 v[16:17], v[16:17], s[4:5]
	s_mov_b32 s4, 0x7e0d1573
	v_fma_f64 v[12:13], v[8:9], v[16:17], -v[12:13]
	s_mov_b32 s5, 0xbcd3eaaa
	v_add_f64 v[12:13], v[12:13], s[4:5]
	s_mov_b32 s4, 0x615290c
	v_fma_f64 v[16:17], v[8:9], v[12:13], -v[16:17]
	;; [unrolled: 4-line block ×26, first 2 shown]
	s_mov_b32 s5, 0x3fd02a63
	v_add_f64 v[8:9], v[8:9], s[4:5]
	v_add_f64 v[8:9], v[8:9], -v[16:17]
	s_mov_b32 s4, 0x652b82fe
	v_mul_f64 v[8:9], v[8:9], 0.5
	s_mov_b32 s5, 0x3ff71547
	v_mul_f64 v[12:13], |v[10:11]|, v[8:9]
	v_mul_f64 v[8:9], |v[10:11]|, s[4:5]
	s_mov_b32 s4, 0xfefa39ef
	v_rndne_f64_e32 v[8:9], v[8:9]
	s_mov_b32 s5, 0xbfe62e42
	v_fma_f64 v[16:17], v[8:9], s[4:5], |v[10:11]|
	s_mov_b32 s4, 0x3b39803f
	s_mov_b32 s5, 0xbc7abc9e
	v_fmac_f64_e32 v[16:17], s[4:5], v[8:9]
	s_mov_b32 s4, 0x6a5dcb37
	v_mov_b32_e32 v18, 0xfca7ab0c
	v_mov_b32_e32 v19, 0x3e928af3
	s_mov_b32 s5, 0x3e5ade15
	v_fmac_f64_e32 v[18:19], s[4:5], v[16:17]
	v_mov_b32_e32 v20, 0x623fde64
	v_mov_b32_e32 v21, 0x3ec71dee
	v_fmac_f64_e32 v[20:21], v[16:17], v[18:19]
	v_mov_b32_e32 v18, 0x7c89e6b0
	v_mov_b32_e32 v19, 0x3efa0199
	;; [unrolled: 3-line block ×8, first 2 shown]
	v_fmac_f64_e32 v[18:19], v[16:17], v[20:21]
	v_fma_f64 v[18:19], v[16:17], v[18:19], 1.0
	v_cmp_ngt_f64_e32 vcc, 0, v[10:11]
	v_fma_f64 v[16:17], v[16:17], v[18:19], 1.0
	v_cvt_i32_f64_e32 v15, v[8:9]
	s_and_saveexec_b64 s[4:5], vcc
	s_xor_b64 s[4:5], exec, s[4:5]
; %bb.14:
	s_mov_b32 s6, 0
	s_mov_b32 s7, 0x40900000
	v_ldexp_f64 v[8:9], v[16:17], v15
	v_mov_b32_e32 v15, 0x7ff00000
	v_cmp_ngt_f64_e64 vcc, |v[10:11]|, s[6:7]
                                        ; implicit-def: $vgpr16_vgpr17
                                        ; implicit-def: $vgpr10_vgpr11
	s_nop 1
	v_cndmask_b32_e32 v9, v15, v9, vcc
	v_cndmask_b32_e32 v8, 0, v8, vcc
	v_mul_f64 v[8:9], v[8:9], v[12:13]
                                        ; implicit-def: $vgpr15
                                        ; implicit-def: $vgpr12_vgpr13
; %bb.15:
	s_andn2_saveexec_b64 s[4:5], s[4:5]
; %bb.16:
	s_mov_b32 s6, 0
	s_mov_b32 s7, 0x40900000
	v_ldexp_f64 v[8:9], -v[16:17], v15
	v_mov_b32_e32 v15, 0xfff00000
	v_cmp_ngt_f64_e64 vcc, |v[10:11]|, s[6:7]
	s_nop 1
	v_cndmask_b32_e32 v9, v15, v9, vcc
	v_cndmask_b32_e32 v8, 0, v8, vcc
	v_mul_f64 v[8:9], v[8:9], v[12:13]
; %bb.17:
	s_or_b64 exec, exec, s[4:5]
                                        ; implicit-def: $vgpr10_vgpr11
.LBB1_18:
	s_andn2_saveexec_b64 s[4:5], s[0:1]
	s_cbranch_execz .LBB1_24
; %bb.19:
	s_mov_b32 s0, 0
	v_and_b32_e32 v9, 0x7fffffff, v11
	v_mov_b32_e32 v8, v10
	s_mov_b32 s1, 0x40400000
	v_div_scale_f64 v[12:13], s[6:7], v[8:9], v[8:9], s[0:1]
	v_rcp_f64_e32 v[16:17], v[12:13]
	v_div_scale_f64 v[8:9], vcc, s[0:1], v[8:9], s[0:1]
	v_mov_b32_e32 v20, 0xfca7ab0c
	v_fma_f64 v[18:19], -v[12:13], v[16:17], 1.0
	v_fmac_f64_e32 v[16:17], v[16:17], v[18:19]
	v_fma_f64 v[18:19], -v[12:13], v[16:17], 1.0
	v_fmac_f64_e32 v[16:17], v[16:17], v[18:19]
	v_mul_f64 v[18:19], v[8:9], v[16:17]
	v_fma_f64 v[8:9], -v[12:13], v[18:19], v[8:9]
	v_div_fmas_f64 v[8:9], v[8:9], v[16:17], v[18:19]
	v_div_fixup_f64 v[8:9], v[8:9], |v[10:11]|, s[0:1]
	s_mov_b32 s0, 0xb352e8e6
	v_add_f64 v[8:9], v[8:9], -2.0
	v_mov_b32_e32 v12, 0xea87b950
	v_mov_b32_e32 v13, 0x3c545b8a
	s_mov_b32 s1, 0x3c61556d
	v_fmac_f64_e32 v[12:13], s[0:1], v[8:9]
	v_mov_b32_e32 v16, 0xb352e8e6
	v_mov_b32_e32 v17, 0xbc61556d
	s_mov_b32 s0, 0xb2532277
	v_fmac_f64_e32 v[16:17], v[8:9], v[12:13]
	s_mov_b32 s1, 0xbc8acea3
	v_add_f64 v[16:17], v[16:17], s[0:1]
	s_mov_b32 s0, 0x9c773320
	v_fma_f64 v[12:13], v[8:9], v[16:17], -v[12:13]
	s_mov_b32 s1, 0xbc82806c
	v_add_f64 v[12:13], v[12:13], s[0:1]
	s_mov_b32 s0, 0xfceb588a
	v_fma_f64 v[16:17], v[8:9], v[12:13], -v[16:17]
	;; [unrolled: 4-line block ×22, first 2 shown]
	s_mov_b32 s1, 0x3fe8ea18
	v_add_f64 v[8:9], v[8:9], s[0:1]
	s_mov_b32 s0, 0x652b82fe
	s_mov_b32 s1, 0x3ff71547
	v_mul_f64 v[12:13], |v[10:11]|, s[0:1]
	s_mov_b32 s0, 0xfefa39ef
	v_rndne_f64_e32 v[12:13], v[12:13]
	s_mov_b32 s1, 0xbfe62e42
	v_fma_f64 v[18:19], v[12:13], s[0:1], |v[10:11]|
	s_mov_b32 s0, 0x3b39803f
	s_mov_b32 s1, 0xbc7abc9e
	v_fmac_f64_e32 v[18:19], s[0:1], v[12:13]
	s_mov_b32 s0, 0x6a5dcb37
	v_mov_b32_e32 v21, 0x3e928af3
	s_mov_b32 s1, 0x3e5ade15
	v_fmac_f64_e32 v[20:21], s[0:1], v[18:19]
	v_mov_b32_e32 v22, 0x623fde64
	v_mov_b32_e32 v23, 0x3ec71dee
	v_fmac_f64_e32 v[22:23], v[18:19], v[20:21]
	v_mov_b32_e32 v20, 0x7c89e6b0
	v_mov_b32_e32 v21, 0x3efa0199
	;; [unrolled: 3-line block ×8, first 2 shown]
	v_fmac_f64_e32 v[20:21], v[18:19], v[22:23]
	v_fma_f64 v[20:21], v[18:19], v[20:21], 1.0
	s_mov_b32 s0, 0
	v_fma_f64 v[18:19], v[18:19], v[20:21], 1.0
	v_cvt_i32_f64_e32 v12, v[12:13]
	s_mov_b32 s1, 0x40900000
	v_ldexp_f64 v[12:13], v[18:19], v12
	v_mov_b32_e32 v15, 0x7ff00000
	v_cmp_ngt_f64_e64 s[0:1], |v[10:11]|, s[0:1]
	v_cmp_ngt_f64_e32 vcc, 0, v[10:11]
	v_add_f64 v[16:17], v[8:9], -v[16:17]
	v_cndmask_b32_e64 v13, v15, v13, s[0:1]
	v_cndmask_b32_e64 v12, 0, v12, s[0:1]
	s_and_saveexec_b64 s[0:1], vcc
	s_xor_b64 s[0:1], exec, s[0:1]
	s_cbranch_execz .LBB1_21
; %bb.20:
	s_mov_b32 s6, 0
	s_brev_b32 s7, 8
	v_mov_b32_e32 v8, 0x100
	v_cmp_lt_f64_e64 vcc, |v[10:11]|, s[6:7]
	v_mul_f64 v[16:17], v[16:17], 0.5
	v_mul_f64 v[12:13], v[12:13], v[16:17]
	v_cndmask_b32_e32 v8, 0, v8, vcc
	v_ldexp_f64 v[8:9], |v[10:11]|, v8
	v_rsq_f64_e32 v[10:11], v[8:9]
	v_mov_b32_e32 v15, 0x260
	v_mul_f64 v[16:17], v[8:9], v[10:11]
	v_mul_f64 v[10:11], v[10:11], 0.5
	v_fma_f64 v[18:19], -v[10:11], v[16:17], 0.5
	v_fmac_f64_e32 v[16:17], v[16:17], v[18:19]
	v_fma_f64 v[20:21], -v[16:17], v[16:17], v[8:9]
	v_fmac_f64_e32 v[10:11], v[10:11], v[18:19]
	v_fmac_f64_e32 v[16:17], v[20:21], v[10:11]
	v_fma_f64 v[18:19], -v[16:17], v[16:17], v[8:9]
	v_fmac_f64_e32 v[16:17], v[18:19], v[10:11]
	v_mov_b32_e32 v10, 0xffffff80
	v_cndmask_b32_e32 v10, 0, v10, vcc
	v_ldexp_f64 v[10:11], v[16:17], v10
	v_cmp_class_f64_e32 vcc, v[8:9], v15
	s_nop 1
	v_cndmask_b32_e32 v9, v11, v9, vcc
	v_cndmask_b32_e32 v8, v10, v8, vcc
	v_div_scale_f64 v[10:11], s[6:7], v[8:9], v[8:9], v[12:13]
	v_rcp_f64_e32 v[16:17], v[10:11]
	s_nop 0
	v_fma_f64 v[18:19], -v[10:11], v[16:17], 1.0
	v_fmac_f64_e32 v[16:17], v[16:17], v[18:19]
	v_fma_f64 v[18:19], -v[10:11], v[16:17], 1.0
	v_fmac_f64_e32 v[16:17], v[16:17], v[18:19]
	v_div_scale_f64 v[18:19], vcc, v[12:13], v[8:9], v[12:13]
	v_mul_f64 v[20:21], v[18:19], v[16:17]
	v_fma_f64 v[10:11], -v[10:11], v[20:21], v[18:19]
	s_nop 1
	v_div_fmas_f64 v[10:11], v[10:11], v[16:17], v[20:21]
	v_div_fixup_f64 v[8:9], v[10:11], v[8:9], v[12:13]
                                        ; implicit-def: $vgpr10_vgpr11
                                        ; implicit-def: $vgpr16_vgpr17
                                        ; implicit-def: $vgpr12_vgpr13
.LBB1_21:
	s_andn2_saveexec_b64 s[0:1], s[0:1]
	s_cbranch_execz .LBB1_23
; %bb.22:
	s_mov_b32 s6, 0
	s_brev_b32 s7, 8
	v_mov_b32_e32 v8, 0x100
	v_cmp_lt_f64_e64 vcc, |v[10:11]|, s[6:7]
	v_mov_b32_e32 v15, 0x260
	s_nop 0
	v_cndmask_b32_e32 v8, 0, v8, vcc
	v_ldexp_f64 v[8:9], |v[10:11]|, v8
	v_rsq_f64_e32 v[10:11], v[8:9]
	s_nop 0
	v_mul_f64 v[18:19], v[8:9], v[10:11]
	v_mul_f64 v[10:11], v[10:11], 0.5
	v_fma_f64 v[20:21], -v[10:11], v[18:19], 0.5
	v_fmac_f64_e32 v[18:19], v[18:19], v[20:21]
	v_fma_f64 v[22:23], -v[18:19], v[18:19], v[8:9]
	v_fmac_f64_e32 v[10:11], v[10:11], v[20:21]
	v_fmac_f64_e32 v[18:19], v[22:23], v[10:11]
	v_fma_f64 v[20:21], -v[18:19], v[18:19], v[8:9]
	v_fmac_f64_e32 v[18:19], v[20:21], v[10:11]
	v_mov_b32_e32 v10, 0xffffff80
	v_cndmask_b32_e32 v10, 0, v10, vcc
	v_ldexp_f64 v[10:11], v[18:19], v10
	v_cmp_class_f64_e32 vcc, v[8:9], v15
	s_nop 1
	v_cndmask_b32_e32 v9, v11, v9, vcc
	v_cndmask_b32_e32 v8, v10, v8, vcc
	v_mul_f64 v[10:11], v[16:17], -0.5
	v_mul_f64 v[10:11], v[12:13], v[10:11]
	v_div_scale_f64 v[12:13], s[6:7], v[8:9], v[8:9], v[10:11]
	v_rcp_f64_e32 v[16:17], v[12:13]
	s_nop 0
	v_fma_f64 v[18:19], -v[12:13], v[16:17], 1.0
	v_fmac_f64_e32 v[16:17], v[16:17], v[18:19]
	v_fma_f64 v[18:19], -v[12:13], v[16:17], 1.0
	v_fmac_f64_e32 v[16:17], v[16:17], v[18:19]
	v_div_scale_f64 v[18:19], vcc, v[10:11], v[8:9], v[10:11]
	v_mul_f64 v[20:21], v[18:19], v[16:17]
	v_fma_f64 v[12:13], -v[12:13], v[20:21], v[18:19]
	s_nop 1
	v_div_fmas_f64 v[12:13], v[12:13], v[16:17], v[20:21]
	v_div_fixup_f64 v[8:9], v[12:13], v[8:9], v[10:11]
.LBB1_23:
	s_or_b64 exec, exec, s[0:1]
.LBB1_24:
	s_or_b64 exec, exec, s[4:5]
	s_mov_b32 s0, 0
	s_mov_b32 s1, 0x40200000
	v_cmp_le_f64_e64 s[0:1], |v[2:3]|, s[0:1]
                                        ; implicit-def: $vgpr10_vgpr11
	s_and_saveexec_b64 s[4:5], s[0:1]
	s_xor_b64 s[0:1], exec, s[4:5]
	s_cbranch_execz .LBB1_30
; %bb.25:
	s_mov_b32 s4, 0xc3c4014
	v_fma_f64 v[10:11], |v[2:3]|, 0.5, -2.0
	v_mov_b32_e32 v12, 0xc38a0576
	v_mov_b32_e32 v13, 0xbc7857d0
	s_mov_b32 s5, 0x3c499f2a
	v_fmac_f64_e32 v[12:13], s[4:5], v[10:11]
	v_mov_b32_e32 v16, 0xc3c4014
	v_mov_b32_e32 v17, 0xbc499f2a
	s_mov_b32 s4, 0xe593bfac
	v_fmac_f64_e32 v[16:17], v[10:11], v[12:13]
	s_mov_b32 s5, 0x3ca663e3
	v_add_f64 v[16:17], v[16:17], s[4:5]
	s_mov_b32 s4, 0x7e0d1573
	v_fma_f64 v[12:13], v[10:11], v[16:17], -v[12:13]
	s_mov_b32 s5, 0xbcd3eaaa
	v_add_f64 v[12:13], v[12:13], s[4:5]
	s_mov_b32 s4, 0x615290c
	v_fma_f64 v[16:17], v[10:11], v[12:13], -v[16:17]
	;; [unrolled: 4-line block ×26, first 2 shown]
	s_mov_b32 s5, 0x3fd02a63
	v_add_f64 v[10:11], v[10:11], s[4:5]
	v_add_f64 v[10:11], v[10:11], -v[16:17]
	s_mov_b32 s4, 0x652b82fe
	v_mul_f64 v[10:11], v[10:11], 0.5
	s_mov_b32 s5, 0x3ff71547
	v_mul_f64 v[12:13], |v[2:3]|, v[10:11]
	v_mul_f64 v[10:11], |v[2:3]|, s[4:5]
	s_mov_b32 s4, 0xfefa39ef
	v_rndne_f64_e32 v[10:11], v[10:11]
	s_mov_b32 s5, 0xbfe62e42
	v_fma_f64 v[16:17], v[10:11], s[4:5], |v[2:3]|
	s_mov_b32 s4, 0x3b39803f
	s_mov_b32 s5, 0xbc7abc9e
	v_fmac_f64_e32 v[16:17], s[4:5], v[10:11]
	s_mov_b32 s4, 0x6a5dcb37
	v_mov_b32_e32 v18, 0xfca7ab0c
	v_mov_b32_e32 v19, 0x3e928af3
	s_mov_b32 s5, 0x3e5ade15
	v_fmac_f64_e32 v[18:19], s[4:5], v[16:17]
	v_mov_b32_e32 v20, 0x623fde64
	v_mov_b32_e32 v21, 0x3ec71dee
	v_fmac_f64_e32 v[20:21], v[16:17], v[18:19]
	v_mov_b32_e32 v18, 0x7c89e6b0
	v_mov_b32_e32 v19, 0x3efa0199
	;; [unrolled: 3-line block ×8, first 2 shown]
	v_fmac_f64_e32 v[18:19], v[16:17], v[20:21]
	v_fma_f64 v[18:19], v[16:17], v[18:19], 1.0
	v_cmp_ngt_f64_e32 vcc, 0, v[2:3]
	v_fma_f64 v[16:17], v[16:17], v[18:19], 1.0
	v_cvt_i32_f64_e32 v15, v[10:11]
                                        ; implicit-def: $vgpr10_vgpr11
	s_and_saveexec_b64 s[4:5], vcc
	s_xor_b64 s[4:5], exec, s[4:5]
; %bb.26:
	s_mov_b32 s6, 0
	s_mov_b32 s7, 0x40900000
	v_ldexp_f64 v[10:11], v[16:17], v15
	v_mov_b32_e32 v15, 0x7ff00000
	v_cmp_ngt_f64_e64 vcc, |v[2:3]|, s[6:7]
                                        ; implicit-def: $vgpr16_vgpr17
	s_nop 1
	v_cndmask_b32_e32 v11, v15, v11, vcc
	v_cndmask_b32_e32 v10, 0, v10, vcc
	v_mul_f64 v[10:11], v[10:11], v[12:13]
                                        ; implicit-def: $vgpr15
                                        ; implicit-def: $vgpr12_vgpr13
; %bb.27:
	s_andn2_saveexec_b64 s[4:5], s[4:5]
; %bb.28:
	s_mov_b32 s6, 0
	s_mov_b32 s7, 0x40900000
	v_ldexp_f64 v[10:11], -v[16:17], v15
	v_mov_b32_e32 v15, 0xfff00000
	v_cmp_ngt_f64_e64 vcc, |v[2:3]|, s[6:7]
	s_nop 1
	v_cndmask_b32_e32 v11, v15, v11, vcc
	v_cndmask_b32_e32 v10, 0, v10, vcc
	v_mul_f64 v[10:11], v[10:11], v[12:13]
; %bb.29:
	s_or_b64 exec, exec, s[4:5]
.LBB1_30:
	s_andn2_saveexec_b64 s[4:5], s[0:1]
	s_cbranch_execz .LBB1_36
; %bb.31:
	s_mov_b32 s0, 0
	v_and_b32_e32 v11, 0x7fffffff, v3
	v_mov_b32_e32 v10, v2
	s_mov_b32 s1, 0x40400000
	v_div_scale_f64 v[12:13], s[6:7], v[10:11], v[10:11], s[0:1]
	v_rcp_f64_e32 v[16:17], v[12:13]
	v_div_scale_f64 v[10:11], vcc, s[0:1], v[10:11], s[0:1]
	v_mov_b32_e32 v20, 0xfca7ab0c
	v_fma_f64 v[18:19], -v[12:13], v[16:17], 1.0
	v_fmac_f64_e32 v[16:17], v[16:17], v[18:19]
	v_fma_f64 v[18:19], -v[12:13], v[16:17], 1.0
	v_fmac_f64_e32 v[16:17], v[16:17], v[18:19]
	v_mul_f64 v[18:19], v[10:11], v[16:17]
	v_fma_f64 v[10:11], -v[12:13], v[18:19], v[10:11]
	v_div_fmas_f64 v[10:11], v[10:11], v[16:17], v[18:19]
	v_div_fixup_f64 v[10:11], v[10:11], |v[2:3]|, s[0:1]
	s_mov_b32 s0, 0xb352e8e6
	v_add_f64 v[10:11], v[10:11], -2.0
	v_mov_b32_e32 v12, 0xea87b950
	v_mov_b32_e32 v13, 0x3c545b8a
	s_mov_b32 s1, 0x3c61556d
	v_fmac_f64_e32 v[12:13], s[0:1], v[10:11]
	v_mov_b32_e32 v16, 0xb352e8e6
	v_mov_b32_e32 v17, 0xbc61556d
	s_mov_b32 s0, 0xb2532277
	v_fmac_f64_e32 v[16:17], v[10:11], v[12:13]
	s_mov_b32 s1, 0xbc8acea3
	v_add_f64 v[16:17], v[16:17], s[0:1]
	s_mov_b32 s0, 0x9c773320
	v_fma_f64 v[12:13], v[10:11], v[16:17], -v[12:13]
	s_mov_b32 s1, 0xbc82806c
	v_add_f64 v[12:13], v[12:13], s[0:1]
	s_mov_b32 s0, 0xfceb588a
	v_fma_f64 v[16:17], v[10:11], v[12:13], -v[16:17]
	;; [unrolled: 4-line block ×22, first 2 shown]
	s_mov_b32 s1, 0x3fe8ea18
	v_add_f64 v[10:11], v[10:11], s[0:1]
	s_mov_b32 s0, 0x652b82fe
	s_mov_b32 s1, 0x3ff71547
	v_mul_f64 v[12:13], |v[2:3]|, s[0:1]
	s_mov_b32 s0, 0xfefa39ef
	v_rndne_f64_e32 v[12:13], v[12:13]
	s_mov_b32 s1, 0xbfe62e42
	v_fma_f64 v[18:19], v[12:13], s[0:1], |v[2:3]|
	s_mov_b32 s0, 0x3b39803f
	s_mov_b32 s1, 0xbc7abc9e
	v_fmac_f64_e32 v[18:19], s[0:1], v[12:13]
	s_mov_b32 s0, 0x6a5dcb37
	v_mov_b32_e32 v21, 0x3e928af3
	s_mov_b32 s1, 0x3e5ade15
	v_fmac_f64_e32 v[20:21], s[0:1], v[18:19]
	v_mov_b32_e32 v22, 0x623fde64
	v_mov_b32_e32 v23, 0x3ec71dee
	v_fmac_f64_e32 v[22:23], v[18:19], v[20:21]
	v_mov_b32_e32 v20, 0x7c89e6b0
	v_mov_b32_e32 v21, 0x3efa0199
	;; [unrolled: 3-line block ×8, first 2 shown]
	v_fmac_f64_e32 v[20:21], v[18:19], v[22:23]
	v_fma_f64 v[20:21], v[18:19], v[20:21], 1.0
	s_mov_b32 s0, 0
	v_fma_f64 v[18:19], v[18:19], v[20:21], 1.0
	v_cvt_i32_f64_e32 v12, v[12:13]
	s_mov_b32 s1, 0x40900000
	v_ldexp_f64 v[12:13], v[18:19], v12
	v_mov_b32_e32 v15, 0x7ff00000
	v_cmp_ngt_f64_e64 s[0:1], |v[2:3]|, s[0:1]
	v_cmp_ngt_f64_e32 vcc, 0, v[2:3]
	v_add_f64 v[16:17], v[10:11], -v[16:17]
	v_cndmask_b32_e64 v13, v15, v13, s[0:1]
	v_cndmask_b32_e64 v12, 0, v12, s[0:1]
                                        ; implicit-def: $vgpr10_vgpr11
	s_and_saveexec_b64 s[0:1], vcc
	s_xor_b64 s[0:1], exec, s[0:1]
	s_cbranch_execz .LBB1_33
; %bb.32:
	s_mov_b32 s6, 0
	s_brev_b32 s7, 8
	v_mov_b32_e32 v10, 0x100
	v_cmp_lt_f64_e64 vcc, |v[2:3]|, s[6:7]
	v_mul_f64 v[16:17], v[16:17], 0.5
	v_mul_f64 v[12:13], v[12:13], v[16:17]
	v_cndmask_b32_e32 v10, 0, v10, vcc
	v_ldexp_f64 v[10:11], |v[2:3]|, v10
	v_rsq_f64_e32 v[18:19], v[10:11]
	v_mov_b32_e32 v15, 0xffffff80
	v_cndmask_b32_e32 v15, 0, v15, vcc
	v_mul_f64 v[16:17], v[10:11], v[18:19]
	v_mul_f64 v[18:19], v[18:19], 0.5
	v_fma_f64 v[20:21], -v[18:19], v[16:17], 0.5
	v_fmac_f64_e32 v[16:17], v[16:17], v[20:21]
	v_fma_f64 v[22:23], -v[16:17], v[16:17], v[10:11]
	v_fmac_f64_e32 v[18:19], v[18:19], v[20:21]
	v_fmac_f64_e32 v[16:17], v[22:23], v[18:19]
	v_fma_f64 v[20:21], -v[16:17], v[16:17], v[10:11]
	v_fmac_f64_e32 v[16:17], v[20:21], v[18:19]
	v_ldexp_f64 v[16:17], v[16:17], v15
	v_mov_b32_e32 v15, 0x260
	v_cmp_class_f64_e32 vcc, v[10:11], v15
	s_nop 1
	v_cndmask_b32_e32 v11, v17, v11, vcc
	v_cndmask_b32_e32 v10, v16, v10, vcc
	v_div_scale_f64 v[16:17], s[6:7], v[10:11], v[10:11], v[12:13]
	v_rcp_f64_e32 v[18:19], v[16:17]
	s_nop 0
	v_fma_f64 v[20:21], -v[16:17], v[18:19], 1.0
	v_fmac_f64_e32 v[18:19], v[18:19], v[20:21]
	v_fma_f64 v[20:21], -v[16:17], v[18:19], 1.0
	v_fmac_f64_e32 v[18:19], v[18:19], v[20:21]
	v_div_scale_f64 v[20:21], vcc, v[12:13], v[10:11], v[12:13]
	v_mul_f64 v[22:23], v[20:21], v[18:19]
	v_fma_f64 v[16:17], -v[16:17], v[22:23], v[20:21]
	s_nop 1
	v_div_fmas_f64 v[16:17], v[16:17], v[18:19], v[22:23]
	v_div_fixup_f64 v[10:11], v[16:17], v[10:11], v[12:13]
                                        ; implicit-def: $vgpr16_vgpr17
                                        ; implicit-def: $vgpr12_vgpr13
.LBB1_33:
	s_andn2_saveexec_b64 s[0:1], s[0:1]
	s_cbranch_execz .LBB1_35
; %bb.34:
	s_mov_b32 s6, 0
	s_brev_b32 s7, 8
	v_mov_b32_e32 v10, 0x100
	v_cmp_lt_f64_e64 vcc, |v[2:3]|, s[6:7]
	v_mov_b32_e32 v15, 0x260
	s_nop 0
	v_cndmask_b32_e32 v10, 0, v10, vcc
	v_ldexp_f64 v[2:3], |v[2:3]|, v10
	v_rsq_f64_e32 v[10:11], v[2:3]
	s_nop 0
	v_mul_f64 v[18:19], v[2:3], v[10:11]
	v_mul_f64 v[10:11], v[10:11], 0.5
	v_fma_f64 v[20:21], -v[10:11], v[18:19], 0.5
	v_fmac_f64_e32 v[18:19], v[18:19], v[20:21]
	v_fma_f64 v[22:23], -v[18:19], v[18:19], v[2:3]
	v_fmac_f64_e32 v[10:11], v[10:11], v[20:21]
	v_fmac_f64_e32 v[18:19], v[22:23], v[10:11]
	v_fma_f64 v[20:21], -v[18:19], v[18:19], v[2:3]
	v_fmac_f64_e32 v[18:19], v[20:21], v[10:11]
	v_mov_b32_e32 v10, 0xffffff80
	v_cndmask_b32_e32 v10, 0, v10, vcc
	v_ldexp_f64 v[10:11], v[18:19], v10
	v_cmp_class_f64_e32 vcc, v[2:3], v15
	s_nop 1
	v_cndmask_b32_e32 v3, v11, v3, vcc
	v_cndmask_b32_e32 v2, v10, v2, vcc
	v_mul_f64 v[10:11], v[16:17], -0.5
	v_mul_f64 v[10:11], v[12:13], v[10:11]
	v_div_scale_f64 v[12:13], s[6:7], v[2:3], v[2:3], v[10:11]
	v_rcp_f64_e32 v[16:17], v[12:13]
	s_nop 0
	v_fma_f64 v[18:19], -v[12:13], v[16:17], 1.0
	v_fmac_f64_e32 v[16:17], v[16:17], v[18:19]
	v_fma_f64 v[18:19], -v[12:13], v[16:17], 1.0
	v_fmac_f64_e32 v[16:17], v[16:17], v[18:19]
	v_div_scale_f64 v[18:19], vcc, v[10:11], v[2:3], v[10:11]
	v_mul_f64 v[20:21], v[18:19], v[16:17]
	v_fma_f64 v[12:13], -v[12:13], v[20:21], v[18:19]
	s_nop 1
	v_div_fmas_f64 v[12:13], v[12:13], v[16:17], v[20:21]
	v_div_fixup_f64 v[10:11], v[12:13], v[2:3], v[10:11]
.LBB1_35:
	s_or_b64 exec, exec, s[0:1]
.LBB1_36:
	s_or_b64 exec, exec, s[4:5]
	s_mov_b32 s0, 0
	s_mov_b32 s1, 0x40200000
	v_cmp_le_f64_e64 s[0:1], |v[4:5]|, s[0:1]
	s_and_saveexec_b64 s[4:5], s[0:1]
	s_xor_b64 s[0:1], exec, s[4:5]
	s_cbranch_execz .LBB1_42
; %bb.37:
	s_mov_b32 s4, 0xc3c4014
	v_fma_f64 v[2:3], |v[4:5]|, 0.5, -2.0
	v_mov_b32_e32 v12, 0xc38a0576
	v_mov_b32_e32 v13, 0xbc7857d0
	s_mov_b32 s5, 0x3c499f2a
	v_fmac_f64_e32 v[12:13], s[4:5], v[2:3]
	v_mov_b32_e32 v16, 0xc3c4014
	v_mov_b32_e32 v17, 0xbc499f2a
	s_mov_b32 s4, 0xe593bfac
	v_fmac_f64_e32 v[16:17], v[2:3], v[12:13]
	s_mov_b32 s5, 0x3ca663e3
	v_add_f64 v[16:17], v[16:17], s[4:5]
	s_mov_b32 s4, 0x7e0d1573
	v_fma_f64 v[12:13], v[2:3], v[16:17], -v[12:13]
	s_mov_b32 s5, 0xbcd3eaaa
	v_add_f64 v[12:13], v[12:13], s[4:5]
	s_mov_b32 s4, 0x615290c
	v_fma_f64 v[16:17], v[2:3], v[12:13], -v[16:17]
	;; [unrolled: 4-line block ×26, first 2 shown]
	s_mov_b32 s5, 0x3fd02a63
	v_add_f64 v[2:3], v[2:3], s[4:5]
	s_mov_b32 s4, 0x652b82fe
	s_mov_b32 s5, 0x3ff71547
	v_mul_f64 v[12:13], |v[4:5]|, s[4:5]
	s_mov_b32 s4, 0xfefa39ef
	v_rndne_f64_e32 v[12:13], v[12:13]
	s_mov_b32 s5, 0xbfe62e42
	v_add_f64 v[2:3], v[2:3], -v[16:17]
	v_fma_f64 v[16:17], v[12:13], s[4:5], |v[4:5]|
	s_mov_b32 s4, 0x3b39803f
	s_mov_b32 s5, 0xbc7abc9e
	v_fmac_f64_e32 v[16:17], s[4:5], v[12:13]
	s_mov_b32 s4, 0x6a5dcb37
	v_mov_b32_e32 v18, 0xfca7ab0c
	v_mov_b32_e32 v19, 0x3e928af3
	s_mov_b32 s5, 0x3e5ade15
	v_fmac_f64_e32 v[18:19], s[4:5], v[16:17]
	v_mov_b32_e32 v20, 0x623fde64
	v_mov_b32_e32 v21, 0x3ec71dee
	v_fmac_f64_e32 v[20:21], v[16:17], v[18:19]
	v_mov_b32_e32 v18, 0x7c89e6b0
	v_mov_b32_e32 v19, 0x3efa0199
	;; [unrolled: 3-line block ×8, first 2 shown]
	v_fmac_f64_e32 v[18:19], v[16:17], v[20:21]
	v_mul_f64 v[2:3], v[2:3], 0.5
	v_fma_f64 v[18:19], v[16:17], v[18:19], 1.0
	v_cmp_ngt_f64_e32 vcc, 0, v[4:5]
	v_mul_f64 v[2:3], |v[4:5]|, v[2:3]
	v_fma_f64 v[16:17], v[16:17], v[18:19], 1.0
	v_cvt_i32_f64_e32 v15, v[12:13]
	s_and_saveexec_b64 s[4:5], vcc
	s_xor_b64 s[4:5], exec, s[4:5]
; %bb.38:
	s_mov_b32 s6, 0
	s_mov_b32 s7, 0x40900000
	v_ldexp_f64 v[12:13], v[16:17], v15
	v_mov_b32_e32 v15, 0x7ff00000
	v_cmp_ngt_f64_e64 vcc, |v[4:5]|, s[6:7]
                                        ; implicit-def: $vgpr16_vgpr17
	s_nop 1
	v_cndmask_b32_e32 v5, v15, v13, vcc
	v_cndmask_b32_e32 v4, 0, v12, vcc
	v_mul_f64 v[12:13], v[4:5], v[2:3]
                                        ; implicit-def: $vgpr15
                                        ; implicit-def: $vgpr4_vgpr5
                                        ; implicit-def: $vgpr2_vgpr3
; %bb.39:
	s_andn2_saveexec_b64 s[4:5], s[4:5]
; %bb.40:
	s_mov_b32 s6, 0
	s_mov_b32 s7, 0x40900000
	v_ldexp_f64 v[12:13], -v[16:17], v15
	v_mov_b32_e32 v15, 0xfff00000
	v_cmp_ngt_f64_e64 vcc, |v[4:5]|, s[6:7]
	s_nop 1
	v_cndmask_b32_e32 v5, v15, v13, vcc
	v_cndmask_b32_e32 v4, 0, v12, vcc
	v_mul_f64 v[12:13], v[4:5], v[2:3]
; %bb.41:
	s_or_b64 exec, exec, s[4:5]
                                        ; implicit-def: $vgpr4_vgpr5
.LBB1_42:
	s_andn2_saveexec_b64 s[4:5], s[0:1]
	s_cbranch_execz .LBB1_48
; %bb.43:
	s_mov_b32 s0, 0
	v_and_b32_e32 v3, 0x7fffffff, v5
	v_mov_b32_e32 v2, v4
	s_mov_b32 s1, 0x40400000
	v_div_scale_f64 v[12:13], s[6:7], v[2:3], v[2:3], s[0:1]
	v_rcp_f64_e32 v[16:17], v[12:13]
	v_div_scale_f64 v[2:3], vcc, s[0:1], v[2:3], s[0:1]
	v_mov_b32_e32 v20, 0xfca7ab0c
	v_fma_f64 v[18:19], -v[12:13], v[16:17], 1.0
	v_fmac_f64_e32 v[16:17], v[16:17], v[18:19]
	v_fma_f64 v[18:19], -v[12:13], v[16:17], 1.0
	v_fmac_f64_e32 v[16:17], v[16:17], v[18:19]
	v_mul_f64 v[18:19], v[2:3], v[16:17]
	v_fma_f64 v[2:3], -v[12:13], v[18:19], v[2:3]
	v_div_fmas_f64 v[2:3], v[2:3], v[16:17], v[18:19]
	v_div_fixup_f64 v[2:3], v[2:3], |v[4:5]|, s[0:1]
	s_mov_b32 s0, 0xb352e8e6
	v_add_f64 v[2:3], v[2:3], -2.0
	v_mov_b32_e32 v12, 0xea87b950
	v_mov_b32_e32 v13, 0x3c545b8a
	s_mov_b32 s1, 0x3c61556d
	v_fmac_f64_e32 v[12:13], s[0:1], v[2:3]
	v_mov_b32_e32 v16, 0xb352e8e6
	v_mov_b32_e32 v17, 0xbc61556d
	s_mov_b32 s0, 0xb2532277
	v_fmac_f64_e32 v[16:17], v[2:3], v[12:13]
	s_mov_b32 s1, 0xbc8acea3
	v_add_f64 v[16:17], v[16:17], s[0:1]
	s_mov_b32 s0, 0x9c773320
	v_fma_f64 v[12:13], v[2:3], v[16:17], -v[12:13]
	s_mov_b32 s1, 0xbc82806c
	v_add_f64 v[12:13], v[12:13], s[0:1]
	s_mov_b32 s0, 0xfceb588a
	v_fma_f64 v[16:17], v[2:3], v[12:13], -v[16:17]
	;; [unrolled: 4-line block ×22, first 2 shown]
	s_mov_b32 s1, 0x3fe8ea18
	v_add_f64 v[12:13], v[2:3], s[0:1]
	s_mov_b32 s0, 0x652b82fe
	s_mov_b32 s1, 0x3ff71547
	v_mul_f64 v[2:3], |v[4:5]|, s[0:1]
	s_mov_b32 s0, 0xfefa39ef
	v_rndne_f64_e32 v[2:3], v[2:3]
	s_mov_b32 s1, 0xbfe62e42
	v_fma_f64 v[18:19], v[2:3], s[0:1], |v[4:5]|
	s_mov_b32 s0, 0x3b39803f
	s_mov_b32 s1, 0xbc7abc9e
	v_fmac_f64_e32 v[18:19], s[0:1], v[2:3]
	s_mov_b32 s0, 0x6a5dcb37
	v_mov_b32_e32 v21, 0x3e928af3
	s_mov_b32 s1, 0x3e5ade15
	v_fmac_f64_e32 v[20:21], s[0:1], v[18:19]
	v_mov_b32_e32 v22, 0x623fde64
	v_mov_b32_e32 v23, 0x3ec71dee
	v_fmac_f64_e32 v[22:23], v[18:19], v[20:21]
	v_mov_b32_e32 v20, 0x7c89e6b0
	v_mov_b32_e32 v21, 0x3efa0199
	;; [unrolled: 3-line block ×8, first 2 shown]
	v_fmac_f64_e32 v[20:21], v[18:19], v[22:23]
	v_fma_f64 v[20:21], v[18:19], v[20:21], 1.0
	s_mov_b32 s0, 0
	v_fma_f64 v[18:19], v[18:19], v[20:21], 1.0
	v_cvt_i32_f64_e32 v2, v[2:3]
	s_mov_b32 s1, 0x40900000
	v_ldexp_f64 v[2:3], v[18:19], v2
	v_mov_b32_e32 v15, 0x7ff00000
	v_cmp_ngt_f64_e64 s[0:1], |v[4:5]|, s[0:1]
	v_cmp_ngt_f64_e32 vcc, 0, v[4:5]
	v_add_f64 v[16:17], v[12:13], -v[16:17]
	v_cndmask_b32_e64 v3, v15, v3, s[0:1]
	v_cndmask_b32_e64 v2, 0, v2, s[0:1]
	s_and_saveexec_b64 s[0:1], vcc
	s_xor_b64 s[0:1], exec, s[0:1]
	s_cbranch_execz .LBB1_45
; %bb.44:
	s_mov_b32 s6, 0
	s_brev_b32 s7, 8
	v_mov_b32_e32 v12, 0x100
	v_cmp_lt_f64_e64 vcc, |v[4:5]|, s[6:7]
	v_mul_f64 v[16:17], v[16:17], 0.5
	v_mul_f64 v[2:3], v[2:3], v[16:17]
	v_cndmask_b32_e32 v12, 0, v12, vcc
	v_ldexp_f64 v[4:5], |v[4:5]|, v12
	v_rsq_f64_e32 v[12:13], v[4:5]
	v_mov_b32_e32 v15, 0x260
	v_mul_f64 v[16:17], v[4:5], v[12:13]
	v_mul_f64 v[12:13], v[12:13], 0.5
	v_fma_f64 v[18:19], -v[12:13], v[16:17], 0.5
	v_fmac_f64_e32 v[16:17], v[16:17], v[18:19]
	v_fma_f64 v[20:21], -v[16:17], v[16:17], v[4:5]
	v_fmac_f64_e32 v[12:13], v[12:13], v[18:19]
	v_fmac_f64_e32 v[16:17], v[20:21], v[12:13]
	v_fma_f64 v[18:19], -v[16:17], v[16:17], v[4:5]
	v_fmac_f64_e32 v[16:17], v[18:19], v[12:13]
	v_mov_b32_e32 v12, 0xffffff80
	v_cndmask_b32_e32 v12, 0, v12, vcc
	v_ldexp_f64 v[12:13], v[16:17], v12
	v_cmp_class_f64_e32 vcc, v[4:5], v15
	s_nop 1
	v_cndmask_b32_e32 v5, v13, v5, vcc
	v_cndmask_b32_e32 v4, v12, v4, vcc
	v_div_scale_f64 v[12:13], s[6:7], v[4:5], v[4:5], v[2:3]
	v_rcp_f64_e32 v[16:17], v[12:13]
	s_nop 0
	v_fma_f64 v[18:19], -v[12:13], v[16:17], 1.0
	v_fmac_f64_e32 v[16:17], v[16:17], v[18:19]
	v_fma_f64 v[18:19], -v[12:13], v[16:17], 1.0
	v_fmac_f64_e32 v[16:17], v[16:17], v[18:19]
	v_div_scale_f64 v[18:19], vcc, v[2:3], v[4:5], v[2:3]
	v_mul_f64 v[20:21], v[18:19], v[16:17]
	v_fma_f64 v[12:13], -v[12:13], v[20:21], v[18:19]
	s_nop 1
	v_div_fmas_f64 v[12:13], v[12:13], v[16:17], v[20:21]
	v_div_fixup_f64 v[12:13], v[12:13], v[4:5], v[2:3]
                                        ; implicit-def: $vgpr4_vgpr5
                                        ; implicit-def: $vgpr16_vgpr17
                                        ; implicit-def: $vgpr2_vgpr3
.LBB1_45:
	s_andn2_saveexec_b64 s[0:1], s[0:1]
	s_cbranch_execz .LBB1_47
; %bb.46:
	s_mov_b32 s6, 0
	s_brev_b32 s7, 8
	v_mov_b32_e32 v12, 0x100
	v_cmp_lt_f64_e64 vcc, |v[4:5]|, s[6:7]
	v_mov_b32_e32 v15, 0x260
	s_nop 0
	v_cndmask_b32_e32 v12, 0, v12, vcc
	v_ldexp_f64 v[4:5], |v[4:5]|, v12
	v_rsq_f64_e32 v[12:13], v[4:5]
	s_nop 0
	v_mul_f64 v[18:19], v[4:5], v[12:13]
	v_mul_f64 v[12:13], v[12:13], 0.5
	v_fma_f64 v[20:21], -v[12:13], v[18:19], 0.5
	v_fmac_f64_e32 v[18:19], v[18:19], v[20:21]
	v_fma_f64 v[22:23], -v[18:19], v[18:19], v[4:5]
	v_fmac_f64_e32 v[12:13], v[12:13], v[20:21]
	v_fmac_f64_e32 v[18:19], v[22:23], v[12:13]
	v_fma_f64 v[20:21], -v[18:19], v[18:19], v[4:5]
	v_fmac_f64_e32 v[18:19], v[20:21], v[12:13]
	v_mov_b32_e32 v12, 0xffffff80
	v_cndmask_b32_e32 v12, 0, v12, vcc
	v_ldexp_f64 v[12:13], v[18:19], v12
	v_cmp_class_f64_e32 vcc, v[4:5], v15
	s_nop 1
	v_cndmask_b32_e32 v5, v13, v5, vcc
	v_cndmask_b32_e32 v4, v12, v4, vcc
	v_mul_f64 v[12:13], v[16:17], -0.5
	v_mul_f64 v[2:3], v[2:3], v[12:13]
	v_div_scale_f64 v[12:13], s[6:7], v[4:5], v[4:5], v[2:3]
	v_rcp_f64_e32 v[16:17], v[12:13]
	s_nop 0
	v_fma_f64 v[18:19], -v[12:13], v[16:17], 1.0
	v_fmac_f64_e32 v[16:17], v[16:17], v[18:19]
	v_fma_f64 v[18:19], -v[12:13], v[16:17], 1.0
	v_fmac_f64_e32 v[16:17], v[16:17], v[18:19]
	v_div_scale_f64 v[18:19], vcc, v[2:3], v[4:5], v[2:3]
	v_mul_f64 v[20:21], v[18:19], v[16:17]
	v_fma_f64 v[12:13], -v[12:13], v[20:21], v[18:19]
	s_nop 1
	v_div_fmas_f64 v[12:13], v[12:13], v[16:17], v[20:21]
	v_div_fixup_f64 v[12:13], v[12:13], v[4:5], v[2:3]
.LBB1_47:
	s_or_b64 exec, exec, s[0:1]
.LBB1_48:
	s_or_b64 exec, exec, s[4:5]
	v_lshl_add_u64 v[0:1], s[2:3], 3, v[0:1]
	v_mov_b32_e32 v15, 0
	v_lshl_add_u64 v[0:1], v[0:1], 0, v[14:15]
	flat_store_dwordx4 v[0:1], v[6:9]
	flat_store_dwordx4 v[0:1], v[10:13] offset:16
	s_waitcnt vmcnt(0) lgkmcnt(0)
	s_setpc_b64 s[30:31]
.Lfunc_end1:
	.size	_ZN2at6native25elementwise_kernel_helperILb0EZZZNS0_12_GLOBAL__N_130modified_bessel_i1_kernel_cudaERNS_18TensorIteratorBaseEENKUlvE_clEvENKUlvE_clEvEUldE_NS0_6memory8policies10vectorizedILi4ESt5arrayIPcLm2EELi4EEEEEvT0_T1_, .Lfunc_end1-_ZN2at6native25elementwise_kernel_helperILb0EZZZNS0_12_GLOBAL__N_130modified_bessel_i1_kernel_cudaERNS_18TensorIteratorBaseEENKUlvE_clEvENKUlvE_clEvEUldE_NS0_6memory8policies10vectorizedILi4ESt5arrayIPcLm2EELi4EEEEEvT0_T1_
                                        ; -- End function
	.set .L_ZN2at6native25elementwise_kernel_helperILb0EZZZNS0_12_GLOBAL__N_130modified_bessel_i1_kernel_cudaERNS_18TensorIteratorBaseEENKUlvE_clEvENKUlvE_clEvEUldE_NS0_6memory8policies10vectorizedILi4ESt5arrayIPcLm2EELi4EEEEEvT0_T1_.num_vgpr, 32
	.set .L_ZN2at6native25elementwise_kernel_helperILb0EZZZNS0_12_GLOBAL__N_130modified_bessel_i1_kernel_cudaERNS_18TensorIteratorBaseEENKUlvE_clEvENKUlvE_clEvEUldE_NS0_6memory8policies10vectorizedILi4ESt5arrayIPcLm2EELi4EEEEEvT0_T1_.num_agpr, 0
	.set .L_ZN2at6native25elementwise_kernel_helperILb0EZZZNS0_12_GLOBAL__N_130modified_bessel_i1_kernel_cudaERNS_18TensorIteratorBaseEENKUlvE_clEvENKUlvE_clEvEUldE_NS0_6memory8policies10vectorizedILi4ESt5arrayIPcLm2EELi4EEEEEvT0_T1_.numbered_sgpr, 32
	.set .L_ZN2at6native25elementwise_kernel_helperILb0EZZZNS0_12_GLOBAL__N_130modified_bessel_i1_kernel_cudaERNS_18TensorIteratorBaseEENKUlvE_clEvENKUlvE_clEvEUldE_NS0_6memory8policies10vectorizedILi4ESt5arrayIPcLm2EELi4EEEEEvT0_T1_.num_named_barrier, 0
	.set .L_ZN2at6native25elementwise_kernel_helperILb0EZZZNS0_12_GLOBAL__N_130modified_bessel_i1_kernel_cudaERNS_18TensorIteratorBaseEENKUlvE_clEvENKUlvE_clEvEUldE_NS0_6memory8policies10vectorizedILi4ESt5arrayIPcLm2EELi4EEEEEvT0_T1_.private_seg_size, 0
	.set .L_ZN2at6native25elementwise_kernel_helperILb0EZZZNS0_12_GLOBAL__N_130modified_bessel_i1_kernel_cudaERNS_18TensorIteratorBaseEENKUlvE_clEvENKUlvE_clEvEUldE_NS0_6memory8policies10vectorizedILi4ESt5arrayIPcLm2EELi4EEEEEvT0_T1_.uses_vcc, 1
	.set .L_ZN2at6native25elementwise_kernel_helperILb0EZZZNS0_12_GLOBAL__N_130modified_bessel_i1_kernel_cudaERNS_18TensorIteratorBaseEENKUlvE_clEvENKUlvE_clEvEUldE_NS0_6memory8policies10vectorizedILi4ESt5arrayIPcLm2EELi4EEEEEvT0_T1_.uses_flat_scratch, 0
	.set .L_ZN2at6native25elementwise_kernel_helperILb0EZZZNS0_12_GLOBAL__N_130modified_bessel_i1_kernel_cudaERNS_18TensorIteratorBaseEENKUlvE_clEvENKUlvE_clEvEUldE_NS0_6memory8policies10vectorizedILi4ESt5arrayIPcLm2EELi4EEEEEvT0_T1_.has_dyn_sized_stack, 0
	.set .L_ZN2at6native25elementwise_kernel_helperILb0EZZZNS0_12_GLOBAL__N_130modified_bessel_i1_kernel_cudaERNS_18TensorIteratorBaseEENKUlvE_clEvENKUlvE_clEvEUldE_NS0_6memory8policies10vectorizedILi4ESt5arrayIPcLm2EELi4EEEEEvT0_T1_.has_recursion, 0
	.set .L_ZN2at6native25elementwise_kernel_helperILb0EZZZNS0_12_GLOBAL__N_130modified_bessel_i1_kernel_cudaERNS_18TensorIteratorBaseEENKUlvE_clEvENKUlvE_clEvEUldE_NS0_6memory8policies10vectorizedILi4ESt5arrayIPcLm2EELi4EEEEEvT0_T1_.has_indirect_call, 0
	.section	.AMDGPU.csdata,"",@progbits
; Function info:
; codeLenInByte = 12732
; TotalNumSgprs: 38
; NumVgprs: 32
; NumAgprs: 0
; TotalNumVgprs: 32
; ScratchSize: 0
; MemoryBound: 0
	.section	.text._ZN2at6native29vectorized_elementwise_kernelILi16EZZZNS0_12_GLOBAL__N_130modified_bessel_i1_kernel_cudaERNS_18TensorIteratorBaseEENKUlvE_clEvENKUlvE_clEvEUldE_St5arrayIPcLm2EEEEviT0_T1_,"axG",@progbits,_ZN2at6native29vectorized_elementwise_kernelILi16EZZZNS0_12_GLOBAL__N_130modified_bessel_i1_kernel_cudaERNS_18TensorIteratorBaseEENKUlvE_clEvENKUlvE_clEvEUldE_St5arrayIPcLm2EEEEviT0_T1_,comdat
	.globl	_ZN2at6native29vectorized_elementwise_kernelILi16EZZZNS0_12_GLOBAL__N_130modified_bessel_i1_kernel_cudaERNS_18TensorIteratorBaseEENKUlvE_clEvENKUlvE_clEvEUldE_St5arrayIPcLm2EEEEviT0_T1_ ; -- Begin function _ZN2at6native29vectorized_elementwise_kernelILi16EZZZNS0_12_GLOBAL__N_130modified_bessel_i1_kernel_cudaERNS_18TensorIteratorBaseEENKUlvE_clEvENKUlvE_clEvEUldE_St5arrayIPcLm2EEEEviT0_T1_
	.p2align	8
	.type	_ZN2at6native29vectorized_elementwise_kernelILi16EZZZNS0_12_GLOBAL__N_130modified_bessel_i1_kernel_cudaERNS_18TensorIteratorBaseEENKUlvE_clEvENKUlvE_clEvEUldE_St5arrayIPcLm2EEEEviT0_T1_,@function
_ZN2at6native29vectorized_elementwise_kernelILi16EZZZNS0_12_GLOBAL__N_130modified_bessel_i1_kernel_cudaERNS_18TensorIteratorBaseEENKUlvE_clEvENKUlvE_clEvEUldE_St5arrayIPcLm2EEEEviT0_T1_: ; @_ZN2at6native29vectorized_elementwise_kernelILi16EZZZNS0_12_GLOBAL__N_130modified_bessel_i1_kernel_cudaERNS_18TensorIteratorBaseEENKUlvE_clEvENKUlvE_clEvEUldE_St5arrayIPcLm2EEEEviT0_T1_
; %bb.0:
	s_mov_b32 s12, s2
	s_load_dword s2, s[0:1], 0x0
	s_load_dwordx4 s[8:11], s[0:1], 0x8
	s_lshl_b32 s0, s12, 10
	v_mov_b32_e32 v31, v0
	s_mov_b32 s32, 0
	s_waitcnt lgkmcnt(0)
	s_sub_i32 s13, s2, s0
	s_cmpk_gt_i32 s13, 0x3ff
	s_mov_b64 s[0:1], -1
	s_cbranch_scc1 .LBB2_3
; %bb.1:
	s_andn2_b64 vcc, exec, s[0:1]
	s_cbranch_vccz .LBB2_4
.LBB2_2:
	s_endpgm
.LBB2_3:
	s_getpc_b64 s[0:1]
	s_add_u32 s0, s0, _ZN2at6native25elementwise_kernel_helperILb0EZZZNS0_12_GLOBAL__N_130modified_bessel_i1_kernel_cudaERNS_18TensorIteratorBaseEENKUlvE_clEvENKUlvE_clEvEUldE_NS0_6memory8policies10vectorizedILi4ESt5arrayIPcLm2EELi4EEEEEvT0_T1_@rel32@lo+4
	s_addc_u32 s1, s1, _ZN2at6native25elementwise_kernel_helperILb0EZZZNS0_12_GLOBAL__N_130modified_bessel_i1_kernel_cudaERNS_18TensorIteratorBaseEENKUlvE_clEvENKUlvE_clEvEUldE_NS0_6memory8policies10vectorizedILi4ESt5arrayIPcLm2EELi4EEEEEvT0_T1_@rel32@hi+12
	v_mov_b32_e32 v0, s8
	v_mov_b32_e32 v1, s9
	;; [unrolled: 1-line block ×4, first 2 shown]
	s_swappc_b64 s[30:31], s[0:1]
	s_cbranch_execnz .LBB2_2
.LBB2_4:
	s_getpc_b64 s[0:1]
	s_add_u32 s0, s0, _ZN2at6native25elementwise_kernel_helperILb0EZZZNS0_12_GLOBAL__N_130modified_bessel_i1_kernel_cudaERNS_18TensorIteratorBaseEENKUlvE_clEvENKUlvE_clEvEUldE_NS0_6memory8policies11unroll_baseILi256ESt5arrayIPcLm2EE23TrivialOffsetCalculatorILi1EjESF_NS8_15LoadWithoutCastENS8_16StoreWithoutCastELi4ELi1EEEEEvT0_T1_@rel32@lo+4
	s_addc_u32 s1, s1, _ZN2at6native25elementwise_kernel_helperILb0EZZZNS0_12_GLOBAL__N_130modified_bessel_i1_kernel_cudaERNS_18TensorIteratorBaseEENKUlvE_clEvENKUlvE_clEvEUldE_NS0_6memory8policies11unroll_baseILi256ESt5arrayIPcLm2EE23TrivialOffsetCalculatorILi1EjESF_NS8_15LoadWithoutCastENS8_16StoreWithoutCastELi4ELi1EEEEEvT0_T1_@rel32@hi+12
	v_mov_b32_e32 v0, s8
	v_mov_b32_e32 v1, s9
	;; [unrolled: 1-line block ×5, first 2 shown]
	s_swappc_b64 s[30:31], s[0:1]
	s_endpgm
	.section	.rodata,"a",@progbits
	.p2align	6, 0x0
	.amdhsa_kernel _ZN2at6native29vectorized_elementwise_kernelILi16EZZZNS0_12_GLOBAL__N_130modified_bessel_i1_kernel_cudaERNS_18TensorIteratorBaseEENKUlvE_clEvENKUlvE_clEvEUldE_St5arrayIPcLm2EEEEviT0_T1_
		.amdhsa_group_segment_fixed_size 0
		.amdhsa_private_segment_fixed_size 0
		.amdhsa_kernarg_size 24
		.amdhsa_user_sgpr_count 2
		.amdhsa_user_sgpr_dispatch_ptr 0
		.amdhsa_user_sgpr_queue_ptr 0
		.amdhsa_user_sgpr_kernarg_segment_ptr 1
		.amdhsa_user_sgpr_dispatch_id 0
		.amdhsa_user_sgpr_kernarg_preload_length 0
		.amdhsa_user_sgpr_kernarg_preload_offset 0
		.amdhsa_user_sgpr_private_segment_size 0
		.amdhsa_uses_dynamic_stack 0
		.amdhsa_enable_private_segment 0
		.amdhsa_system_sgpr_workgroup_id_x 1
		.amdhsa_system_sgpr_workgroup_id_y 0
		.amdhsa_system_sgpr_workgroup_id_z 0
		.amdhsa_system_sgpr_workgroup_info 0
		.amdhsa_system_vgpr_workitem_id 0
		.amdhsa_next_free_vgpr 32
		.amdhsa_next_free_sgpr 33
		.amdhsa_accum_offset 32
		.amdhsa_reserve_vcc 1
		.amdhsa_float_round_mode_32 0
		.amdhsa_float_round_mode_16_64 0
		.amdhsa_float_denorm_mode_32 3
		.amdhsa_float_denorm_mode_16_64 3
		.amdhsa_dx10_clamp 1
		.amdhsa_ieee_mode 1
		.amdhsa_fp16_overflow 0
		.amdhsa_tg_split 0
		.amdhsa_exception_fp_ieee_invalid_op 0
		.amdhsa_exception_fp_denorm_src 0
		.amdhsa_exception_fp_ieee_div_zero 0
		.amdhsa_exception_fp_ieee_overflow 0
		.amdhsa_exception_fp_ieee_underflow 0
		.amdhsa_exception_fp_ieee_inexact 0
		.amdhsa_exception_int_div_zero 0
	.end_amdhsa_kernel
	.section	.text._ZN2at6native29vectorized_elementwise_kernelILi16EZZZNS0_12_GLOBAL__N_130modified_bessel_i1_kernel_cudaERNS_18TensorIteratorBaseEENKUlvE_clEvENKUlvE_clEvEUldE_St5arrayIPcLm2EEEEviT0_T1_,"axG",@progbits,_ZN2at6native29vectorized_elementwise_kernelILi16EZZZNS0_12_GLOBAL__N_130modified_bessel_i1_kernel_cudaERNS_18TensorIteratorBaseEENKUlvE_clEvENKUlvE_clEvEUldE_St5arrayIPcLm2EEEEviT0_T1_,comdat
.Lfunc_end2:
	.size	_ZN2at6native29vectorized_elementwise_kernelILi16EZZZNS0_12_GLOBAL__N_130modified_bessel_i1_kernel_cudaERNS_18TensorIteratorBaseEENKUlvE_clEvENKUlvE_clEvEUldE_St5arrayIPcLm2EEEEviT0_T1_, .Lfunc_end2-_ZN2at6native29vectorized_elementwise_kernelILi16EZZZNS0_12_GLOBAL__N_130modified_bessel_i1_kernel_cudaERNS_18TensorIteratorBaseEENKUlvE_clEvENKUlvE_clEvEUldE_St5arrayIPcLm2EEEEviT0_T1_
                                        ; -- End function
	.set _ZN2at6native29vectorized_elementwise_kernelILi16EZZZNS0_12_GLOBAL__N_130modified_bessel_i1_kernel_cudaERNS_18TensorIteratorBaseEENKUlvE_clEvENKUlvE_clEvEUldE_St5arrayIPcLm2EEEEviT0_T1_.num_vgpr, max(32, .L_ZN2at6native25elementwise_kernel_helperILb0EZZZNS0_12_GLOBAL__N_130modified_bessel_i1_kernel_cudaERNS_18TensorIteratorBaseEENKUlvE_clEvENKUlvE_clEvEUldE_NS0_6memory8policies10vectorizedILi4ESt5arrayIPcLm2EELi4EEEEEvT0_T1_.num_vgpr, .L_ZN2at6native25elementwise_kernel_helperILb0EZZZNS0_12_GLOBAL__N_130modified_bessel_i1_kernel_cudaERNS_18TensorIteratorBaseEENKUlvE_clEvENKUlvE_clEvEUldE_NS0_6memory8policies11unroll_baseILi256ESt5arrayIPcLm2EE23TrivialOffsetCalculatorILi1EjESF_NS8_15LoadWithoutCastENS8_16StoreWithoutCastELi4ELi1EEEEEvT0_T1_.num_vgpr)
	.set _ZN2at6native29vectorized_elementwise_kernelILi16EZZZNS0_12_GLOBAL__N_130modified_bessel_i1_kernel_cudaERNS_18TensorIteratorBaseEENKUlvE_clEvENKUlvE_clEvEUldE_St5arrayIPcLm2EEEEviT0_T1_.num_agpr, max(0, .L_ZN2at6native25elementwise_kernel_helperILb0EZZZNS0_12_GLOBAL__N_130modified_bessel_i1_kernel_cudaERNS_18TensorIteratorBaseEENKUlvE_clEvENKUlvE_clEvEUldE_NS0_6memory8policies10vectorizedILi4ESt5arrayIPcLm2EELi4EEEEEvT0_T1_.num_agpr, .L_ZN2at6native25elementwise_kernel_helperILb0EZZZNS0_12_GLOBAL__N_130modified_bessel_i1_kernel_cudaERNS_18TensorIteratorBaseEENKUlvE_clEvENKUlvE_clEvEUldE_NS0_6memory8policies11unroll_baseILi256ESt5arrayIPcLm2EE23TrivialOffsetCalculatorILi1EjESF_NS8_15LoadWithoutCastENS8_16StoreWithoutCastELi4ELi1EEEEEvT0_T1_.num_agpr)
	.set _ZN2at6native29vectorized_elementwise_kernelILi16EZZZNS0_12_GLOBAL__N_130modified_bessel_i1_kernel_cudaERNS_18TensorIteratorBaseEENKUlvE_clEvENKUlvE_clEvEUldE_St5arrayIPcLm2EEEEviT0_T1_.numbered_sgpr, max(33, .L_ZN2at6native25elementwise_kernel_helperILb0EZZZNS0_12_GLOBAL__N_130modified_bessel_i1_kernel_cudaERNS_18TensorIteratorBaseEENKUlvE_clEvENKUlvE_clEvEUldE_NS0_6memory8policies10vectorizedILi4ESt5arrayIPcLm2EELi4EEEEEvT0_T1_.numbered_sgpr, .L_ZN2at6native25elementwise_kernel_helperILb0EZZZNS0_12_GLOBAL__N_130modified_bessel_i1_kernel_cudaERNS_18TensorIteratorBaseEENKUlvE_clEvENKUlvE_clEvEUldE_NS0_6memory8policies11unroll_baseILi256ESt5arrayIPcLm2EE23TrivialOffsetCalculatorILi1EjESF_NS8_15LoadWithoutCastENS8_16StoreWithoutCastELi4ELi1EEEEEvT0_T1_.numbered_sgpr)
	.set _ZN2at6native29vectorized_elementwise_kernelILi16EZZZNS0_12_GLOBAL__N_130modified_bessel_i1_kernel_cudaERNS_18TensorIteratorBaseEENKUlvE_clEvENKUlvE_clEvEUldE_St5arrayIPcLm2EEEEviT0_T1_.num_named_barrier, max(0, .L_ZN2at6native25elementwise_kernel_helperILb0EZZZNS0_12_GLOBAL__N_130modified_bessel_i1_kernel_cudaERNS_18TensorIteratorBaseEENKUlvE_clEvENKUlvE_clEvEUldE_NS0_6memory8policies10vectorizedILi4ESt5arrayIPcLm2EELi4EEEEEvT0_T1_.num_named_barrier, .L_ZN2at6native25elementwise_kernel_helperILb0EZZZNS0_12_GLOBAL__N_130modified_bessel_i1_kernel_cudaERNS_18TensorIteratorBaseEENKUlvE_clEvENKUlvE_clEvEUldE_NS0_6memory8policies11unroll_baseILi256ESt5arrayIPcLm2EE23TrivialOffsetCalculatorILi1EjESF_NS8_15LoadWithoutCastENS8_16StoreWithoutCastELi4ELi1EEEEEvT0_T1_.num_named_barrier)
	.set _ZN2at6native29vectorized_elementwise_kernelILi16EZZZNS0_12_GLOBAL__N_130modified_bessel_i1_kernel_cudaERNS_18TensorIteratorBaseEENKUlvE_clEvENKUlvE_clEvEUldE_St5arrayIPcLm2EEEEviT0_T1_.private_seg_size, 0+max(.L_ZN2at6native25elementwise_kernel_helperILb0EZZZNS0_12_GLOBAL__N_130modified_bessel_i1_kernel_cudaERNS_18TensorIteratorBaseEENKUlvE_clEvENKUlvE_clEvEUldE_NS0_6memory8policies10vectorizedILi4ESt5arrayIPcLm2EELi4EEEEEvT0_T1_.private_seg_size, .L_ZN2at6native25elementwise_kernel_helperILb0EZZZNS0_12_GLOBAL__N_130modified_bessel_i1_kernel_cudaERNS_18TensorIteratorBaseEENKUlvE_clEvENKUlvE_clEvEUldE_NS0_6memory8policies11unroll_baseILi256ESt5arrayIPcLm2EE23TrivialOffsetCalculatorILi1EjESF_NS8_15LoadWithoutCastENS8_16StoreWithoutCastELi4ELi1EEEEEvT0_T1_.private_seg_size)
	.set _ZN2at6native29vectorized_elementwise_kernelILi16EZZZNS0_12_GLOBAL__N_130modified_bessel_i1_kernel_cudaERNS_18TensorIteratorBaseEENKUlvE_clEvENKUlvE_clEvEUldE_St5arrayIPcLm2EEEEviT0_T1_.uses_vcc, or(1, .L_ZN2at6native25elementwise_kernel_helperILb0EZZZNS0_12_GLOBAL__N_130modified_bessel_i1_kernel_cudaERNS_18TensorIteratorBaseEENKUlvE_clEvENKUlvE_clEvEUldE_NS0_6memory8policies10vectorizedILi4ESt5arrayIPcLm2EELi4EEEEEvT0_T1_.uses_vcc, .L_ZN2at6native25elementwise_kernel_helperILb0EZZZNS0_12_GLOBAL__N_130modified_bessel_i1_kernel_cudaERNS_18TensorIteratorBaseEENKUlvE_clEvENKUlvE_clEvEUldE_NS0_6memory8policies11unroll_baseILi256ESt5arrayIPcLm2EE23TrivialOffsetCalculatorILi1EjESF_NS8_15LoadWithoutCastENS8_16StoreWithoutCastELi4ELi1EEEEEvT0_T1_.uses_vcc)
	.set _ZN2at6native29vectorized_elementwise_kernelILi16EZZZNS0_12_GLOBAL__N_130modified_bessel_i1_kernel_cudaERNS_18TensorIteratorBaseEENKUlvE_clEvENKUlvE_clEvEUldE_St5arrayIPcLm2EEEEviT0_T1_.uses_flat_scratch, or(0, .L_ZN2at6native25elementwise_kernel_helperILb0EZZZNS0_12_GLOBAL__N_130modified_bessel_i1_kernel_cudaERNS_18TensorIteratorBaseEENKUlvE_clEvENKUlvE_clEvEUldE_NS0_6memory8policies10vectorizedILi4ESt5arrayIPcLm2EELi4EEEEEvT0_T1_.uses_flat_scratch, .L_ZN2at6native25elementwise_kernel_helperILb0EZZZNS0_12_GLOBAL__N_130modified_bessel_i1_kernel_cudaERNS_18TensorIteratorBaseEENKUlvE_clEvENKUlvE_clEvEUldE_NS0_6memory8policies11unroll_baseILi256ESt5arrayIPcLm2EE23TrivialOffsetCalculatorILi1EjESF_NS8_15LoadWithoutCastENS8_16StoreWithoutCastELi4ELi1EEEEEvT0_T1_.uses_flat_scratch)
	.set _ZN2at6native29vectorized_elementwise_kernelILi16EZZZNS0_12_GLOBAL__N_130modified_bessel_i1_kernel_cudaERNS_18TensorIteratorBaseEENKUlvE_clEvENKUlvE_clEvEUldE_St5arrayIPcLm2EEEEviT0_T1_.has_dyn_sized_stack, or(0, .L_ZN2at6native25elementwise_kernel_helperILb0EZZZNS0_12_GLOBAL__N_130modified_bessel_i1_kernel_cudaERNS_18TensorIteratorBaseEENKUlvE_clEvENKUlvE_clEvEUldE_NS0_6memory8policies10vectorizedILi4ESt5arrayIPcLm2EELi4EEEEEvT0_T1_.has_dyn_sized_stack, .L_ZN2at6native25elementwise_kernel_helperILb0EZZZNS0_12_GLOBAL__N_130modified_bessel_i1_kernel_cudaERNS_18TensorIteratorBaseEENKUlvE_clEvENKUlvE_clEvEUldE_NS0_6memory8policies11unroll_baseILi256ESt5arrayIPcLm2EE23TrivialOffsetCalculatorILi1EjESF_NS8_15LoadWithoutCastENS8_16StoreWithoutCastELi4ELi1EEEEEvT0_T1_.has_dyn_sized_stack)
	.set _ZN2at6native29vectorized_elementwise_kernelILi16EZZZNS0_12_GLOBAL__N_130modified_bessel_i1_kernel_cudaERNS_18TensorIteratorBaseEENKUlvE_clEvENKUlvE_clEvEUldE_St5arrayIPcLm2EEEEviT0_T1_.has_recursion, or(0, .L_ZN2at6native25elementwise_kernel_helperILb0EZZZNS0_12_GLOBAL__N_130modified_bessel_i1_kernel_cudaERNS_18TensorIteratorBaseEENKUlvE_clEvENKUlvE_clEvEUldE_NS0_6memory8policies10vectorizedILi4ESt5arrayIPcLm2EELi4EEEEEvT0_T1_.has_recursion, .L_ZN2at6native25elementwise_kernel_helperILb0EZZZNS0_12_GLOBAL__N_130modified_bessel_i1_kernel_cudaERNS_18TensorIteratorBaseEENKUlvE_clEvENKUlvE_clEvEUldE_NS0_6memory8policies11unroll_baseILi256ESt5arrayIPcLm2EE23TrivialOffsetCalculatorILi1EjESF_NS8_15LoadWithoutCastENS8_16StoreWithoutCastELi4ELi1EEEEEvT0_T1_.has_recursion)
	.set _ZN2at6native29vectorized_elementwise_kernelILi16EZZZNS0_12_GLOBAL__N_130modified_bessel_i1_kernel_cudaERNS_18TensorIteratorBaseEENKUlvE_clEvENKUlvE_clEvEUldE_St5arrayIPcLm2EEEEviT0_T1_.has_indirect_call, or(0, .L_ZN2at6native25elementwise_kernel_helperILb0EZZZNS0_12_GLOBAL__N_130modified_bessel_i1_kernel_cudaERNS_18TensorIteratorBaseEENKUlvE_clEvENKUlvE_clEvEUldE_NS0_6memory8policies10vectorizedILi4ESt5arrayIPcLm2EELi4EEEEEvT0_T1_.has_indirect_call, .L_ZN2at6native25elementwise_kernel_helperILb0EZZZNS0_12_GLOBAL__N_130modified_bessel_i1_kernel_cudaERNS_18TensorIteratorBaseEENKUlvE_clEvENKUlvE_clEvEUldE_NS0_6memory8policies11unroll_baseILi256ESt5arrayIPcLm2EE23TrivialOffsetCalculatorILi1EjESF_NS8_15LoadWithoutCastENS8_16StoreWithoutCastELi4ELi1EEEEEvT0_T1_.has_indirect_call)
	.section	.AMDGPU.csdata,"",@progbits
; Kernel info:
; codeLenInByte = 156
; TotalNumSgprs: 39
; NumVgprs: 32
; NumAgprs: 0
; TotalNumVgprs: 32
; ScratchSize: 0
; MemoryBound: 0
; FloatMode: 240
; IeeeMode: 1
; LDSByteSize: 0 bytes/workgroup (compile time only)
; SGPRBlocks: 4
; VGPRBlocks: 3
; NumSGPRsForWavesPerEU: 39
; NumVGPRsForWavesPerEU: 32
; AccumOffset: 32
; Occupancy: 8
; WaveLimiterHint : 0
; COMPUTE_PGM_RSRC2:SCRATCH_EN: 0
; COMPUTE_PGM_RSRC2:USER_SGPR: 2
; COMPUTE_PGM_RSRC2:TRAP_HANDLER: 0
; COMPUTE_PGM_RSRC2:TGID_X_EN: 1
; COMPUTE_PGM_RSRC2:TGID_Y_EN: 0
; COMPUTE_PGM_RSRC2:TGID_Z_EN: 0
; COMPUTE_PGM_RSRC2:TIDIG_COMP_CNT: 0
; COMPUTE_PGM_RSRC3_GFX90A:ACCUM_OFFSET: 7
; COMPUTE_PGM_RSRC3_GFX90A:TG_SPLIT: 0
	.section	.text._ZN2at6native29vectorized_elementwise_kernelILi8EZZZNS0_12_GLOBAL__N_130modified_bessel_i1_kernel_cudaERNS_18TensorIteratorBaseEENKUlvE_clEvENKUlvE_clEvEUldE_St5arrayIPcLm2EEEEviT0_T1_,"axG",@progbits,_ZN2at6native29vectorized_elementwise_kernelILi8EZZZNS0_12_GLOBAL__N_130modified_bessel_i1_kernel_cudaERNS_18TensorIteratorBaseEENKUlvE_clEvENKUlvE_clEvEUldE_St5arrayIPcLm2EEEEviT0_T1_,comdat
	.globl	_ZN2at6native29vectorized_elementwise_kernelILi8EZZZNS0_12_GLOBAL__N_130modified_bessel_i1_kernel_cudaERNS_18TensorIteratorBaseEENKUlvE_clEvENKUlvE_clEvEUldE_St5arrayIPcLm2EEEEviT0_T1_ ; -- Begin function _ZN2at6native29vectorized_elementwise_kernelILi8EZZZNS0_12_GLOBAL__N_130modified_bessel_i1_kernel_cudaERNS_18TensorIteratorBaseEENKUlvE_clEvENKUlvE_clEvEUldE_St5arrayIPcLm2EEEEviT0_T1_
	.p2align	8
	.type	_ZN2at6native29vectorized_elementwise_kernelILi8EZZZNS0_12_GLOBAL__N_130modified_bessel_i1_kernel_cudaERNS_18TensorIteratorBaseEENKUlvE_clEvENKUlvE_clEvEUldE_St5arrayIPcLm2EEEEviT0_T1_,@function
_ZN2at6native29vectorized_elementwise_kernelILi8EZZZNS0_12_GLOBAL__N_130modified_bessel_i1_kernel_cudaERNS_18TensorIteratorBaseEENKUlvE_clEvENKUlvE_clEvEUldE_St5arrayIPcLm2EEEEviT0_T1_: ; @_ZN2at6native29vectorized_elementwise_kernelILi8EZZZNS0_12_GLOBAL__N_130modified_bessel_i1_kernel_cudaERNS_18TensorIteratorBaseEENKUlvE_clEvENKUlvE_clEvEUldE_St5arrayIPcLm2EEEEviT0_T1_
; %bb.0:
	s_mov_b32 s12, s2
	s_load_dword s2, s[0:1], 0x0
	s_load_dwordx4 s[8:11], s[0:1], 0x8
	s_lshl_b32 s0, s12, 10
	v_mov_b32_e32 v31, v0
	s_mov_b32 s32, 0
	s_waitcnt lgkmcnt(0)
	s_sub_i32 s13, s2, s0
	s_cmpk_gt_i32 s13, 0x3ff
	s_mov_b64 s[0:1], -1
	s_cbranch_scc1 .LBB3_3
; %bb.1:
	s_andn2_b64 vcc, exec, s[0:1]
	s_cbranch_vccz .LBB3_4
.LBB3_2:
	s_endpgm
.LBB3_3:
	s_getpc_b64 s[0:1]
	s_add_u32 s0, s0, _ZN2at6native25elementwise_kernel_helperILb0EZZZNS0_12_GLOBAL__N_130modified_bessel_i1_kernel_cudaERNS_18TensorIteratorBaseEENKUlvE_clEvENKUlvE_clEvEUldE_NS0_6memory8policies10vectorizedILi4ESt5arrayIPcLm2EELi4EEEEEvT0_T1_@rel32@lo+4
	s_addc_u32 s1, s1, _ZN2at6native25elementwise_kernel_helperILb0EZZZNS0_12_GLOBAL__N_130modified_bessel_i1_kernel_cudaERNS_18TensorIteratorBaseEENKUlvE_clEvENKUlvE_clEvEUldE_NS0_6memory8policies10vectorizedILi4ESt5arrayIPcLm2EELi4EEEEEvT0_T1_@rel32@hi+12
	v_mov_b32_e32 v0, s8
	v_mov_b32_e32 v1, s9
	;; [unrolled: 1-line block ×4, first 2 shown]
	s_swappc_b64 s[30:31], s[0:1]
	s_cbranch_execnz .LBB3_2
.LBB3_4:
	s_getpc_b64 s[0:1]
	s_add_u32 s0, s0, _ZN2at6native25elementwise_kernel_helperILb0EZZZNS0_12_GLOBAL__N_130modified_bessel_i1_kernel_cudaERNS_18TensorIteratorBaseEENKUlvE_clEvENKUlvE_clEvEUldE_NS0_6memory8policies11unroll_baseILi256ESt5arrayIPcLm2EE23TrivialOffsetCalculatorILi1EjESF_NS8_15LoadWithoutCastENS8_16StoreWithoutCastELi4ELi1EEEEEvT0_T1_@rel32@lo+4
	s_addc_u32 s1, s1, _ZN2at6native25elementwise_kernel_helperILb0EZZZNS0_12_GLOBAL__N_130modified_bessel_i1_kernel_cudaERNS_18TensorIteratorBaseEENKUlvE_clEvENKUlvE_clEvEUldE_NS0_6memory8policies11unroll_baseILi256ESt5arrayIPcLm2EE23TrivialOffsetCalculatorILi1EjESF_NS8_15LoadWithoutCastENS8_16StoreWithoutCastELi4ELi1EEEEEvT0_T1_@rel32@hi+12
	v_mov_b32_e32 v0, s8
	v_mov_b32_e32 v1, s9
	;; [unrolled: 1-line block ×5, first 2 shown]
	s_swappc_b64 s[30:31], s[0:1]
	s_endpgm
	.section	.rodata,"a",@progbits
	.p2align	6, 0x0
	.amdhsa_kernel _ZN2at6native29vectorized_elementwise_kernelILi8EZZZNS0_12_GLOBAL__N_130modified_bessel_i1_kernel_cudaERNS_18TensorIteratorBaseEENKUlvE_clEvENKUlvE_clEvEUldE_St5arrayIPcLm2EEEEviT0_T1_
		.amdhsa_group_segment_fixed_size 0
		.amdhsa_private_segment_fixed_size 0
		.amdhsa_kernarg_size 24
		.amdhsa_user_sgpr_count 2
		.amdhsa_user_sgpr_dispatch_ptr 0
		.amdhsa_user_sgpr_queue_ptr 0
		.amdhsa_user_sgpr_kernarg_segment_ptr 1
		.amdhsa_user_sgpr_dispatch_id 0
		.amdhsa_user_sgpr_kernarg_preload_length 0
		.amdhsa_user_sgpr_kernarg_preload_offset 0
		.amdhsa_user_sgpr_private_segment_size 0
		.amdhsa_uses_dynamic_stack 0
		.amdhsa_enable_private_segment 0
		.amdhsa_system_sgpr_workgroup_id_x 1
		.amdhsa_system_sgpr_workgroup_id_y 0
		.amdhsa_system_sgpr_workgroup_id_z 0
		.amdhsa_system_sgpr_workgroup_info 0
		.amdhsa_system_vgpr_workitem_id 0
		.amdhsa_next_free_vgpr 32
		.amdhsa_next_free_sgpr 33
		.amdhsa_accum_offset 32
		.amdhsa_reserve_vcc 1
		.amdhsa_float_round_mode_32 0
		.amdhsa_float_round_mode_16_64 0
		.amdhsa_float_denorm_mode_32 3
		.amdhsa_float_denorm_mode_16_64 3
		.amdhsa_dx10_clamp 1
		.amdhsa_ieee_mode 1
		.amdhsa_fp16_overflow 0
		.amdhsa_tg_split 0
		.amdhsa_exception_fp_ieee_invalid_op 0
		.amdhsa_exception_fp_denorm_src 0
		.amdhsa_exception_fp_ieee_div_zero 0
		.amdhsa_exception_fp_ieee_overflow 0
		.amdhsa_exception_fp_ieee_underflow 0
		.amdhsa_exception_fp_ieee_inexact 0
		.amdhsa_exception_int_div_zero 0
	.end_amdhsa_kernel
	.section	.text._ZN2at6native29vectorized_elementwise_kernelILi8EZZZNS0_12_GLOBAL__N_130modified_bessel_i1_kernel_cudaERNS_18TensorIteratorBaseEENKUlvE_clEvENKUlvE_clEvEUldE_St5arrayIPcLm2EEEEviT0_T1_,"axG",@progbits,_ZN2at6native29vectorized_elementwise_kernelILi8EZZZNS0_12_GLOBAL__N_130modified_bessel_i1_kernel_cudaERNS_18TensorIteratorBaseEENKUlvE_clEvENKUlvE_clEvEUldE_St5arrayIPcLm2EEEEviT0_T1_,comdat
.Lfunc_end3:
	.size	_ZN2at6native29vectorized_elementwise_kernelILi8EZZZNS0_12_GLOBAL__N_130modified_bessel_i1_kernel_cudaERNS_18TensorIteratorBaseEENKUlvE_clEvENKUlvE_clEvEUldE_St5arrayIPcLm2EEEEviT0_T1_, .Lfunc_end3-_ZN2at6native29vectorized_elementwise_kernelILi8EZZZNS0_12_GLOBAL__N_130modified_bessel_i1_kernel_cudaERNS_18TensorIteratorBaseEENKUlvE_clEvENKUlvE_clEvEUldE_St5arrayIPcLm2EEEEviT0_T1_
                                        ; -- End function
	.set _ZN2at6native29vectorized_elementwise_kernelILi8EZZZNS0_12_GLOBAL__N_130modified_bessel_i1_kernel_cudaERNS_18TensorIteratorBaseEENKUlvE_clEvENKUlvE_clEvEUldE_St5arrayIPcLm2EEEEviT0_T1_.num_vgpr, max(32, .L_ZN2at6native25elementwise_kernel_helperILb0EZZZNS0_12_GLOBAL__N_130modified_bessel_i1_kernel_cudaERNS_18TensorIteratorBaseEENKUlvE_clEvENKUlvE_clEvEUldE_NS0_6memory8policies10vectorizedILi4ESt5arrayIPcLm2EELi4EEEEEvT0_T1_.num_vgpr, .L_ZN2at6native25elementwise_kernel_helperILb0EZZZNS0_12_GLOBAL__N_130modified_bessel_i1_kernel_cudaERNS_18TensorIteratorBaseEENKUlvE_clEvENKUlvE_clEvEUldE_NS0_6memory8policies11unroll_baseILi256ESt5arrayIPcLm2EE23TrivialOffsetCalculatorILi1EjESF_NS8_15LoadWithoutCastENS8_16StoreWithoutCastELi4ELi1EEEEEvT0_T1_.num_vgpr)
	.set _ZN2at6native29vectorized_elementwise_kernelILi8EZZZNS0_12_GLOBAL__N_130modified_bessel_i1_kernel_cudaERNS_18TensorIteratorBaseEENKUlvE_clEvENKUlvE_clEvEUldE_St5arrayIPcLm2EEEEviT0_T1_.num_agpr, max(0, .L_ZN2at6native25elementwise_kernel_helperILb0EZZZNS0_12_GLOBAL__N_130modified_bessel_i1_kernel_cudaERNS_18TensorIteratorBaseEENKUlvE_clEvENKUlvE_clEvEUldE_NS0_6memory8policies10vectorizedILi4ESt5arrayIPcLm2EELi4EEEEEvT0_T1_.num_agpr, .L_ZN2at6native25elementwise_kernel_helperILb0EZZZNS0_12_GLOBAL__N_130modified_bessel_i1_kernel_cudaERNS_18TensorIteratorBaseEENKUlvE_clEvENKUlvE_clEvEUldE_NS0_6memory8policies11unroll_baseILi256ESt5arrayIPcLm2EE23TrivialOffsetCalculatorILi1EjESF_NS8_15LoadWithoutCastENS8_16StoreWithoutCastELi4ELi1EEEEEvT0_T1_.num_agpr)
	.set _ZN2at6native29vectorized_elementwise_kernelILi8EZZZNS0_12_GLOBAL__N_130modified_bessel_i1_kernel_cudaERNS_18TensorIteratorBaseEENKUlvE_clEvENKUlvE_clEvEUldE_St5arrayIPcLm2EEEEviT0_T1_.numbered_sgpr, max(33, .L_ZN2at6native25elementwise_kernel_helperILb0EZZZNS0_12_GLOBAL__N_130modified_bessel_i1_kernel_cudaERNS_18TensorIteratorBaseEENKUlvE_clEvENKUlvE_clEvEUldE_NS0_6memory8policies10vectorizedILi4ESt5arrayIPcLm2EELi4EEEEEvT0_T1_.numbered_sgpr, .L_ZN2at6native25elementwise_kernel_helperILb0EZZZNS0_12_GLOBAL__N_130modified_bessel_i1_kernel_cudaERNS_18TensorIteratorBaseEENKUlvE_clEvENKUlvE_clEvEUldE_NS0_6memory8policies11unroll_baseILi256ESt5arrayIPcLm2EE23TrivialOffsetCalculatorILi1EjESF_NS8_15LoadWithoutCastENS8_16StoreWithoutCastELi4ELi1EEEEEvT0_T1_.numbered_sgpr)
	.set _ZN2at6native29vectorized_elementwise_kernelILi8EZZZNS0_12_GLOBAL__N_130modified_bessel_i1_kernel_cudaERNS_18TensorIteratorBaseEENKUlvE_clEvENKUlvE_clEvEUldE_St5arrayIPcLm2EEEEviT0_T1_.num_named_barrier, max(0, .L_ZN2at6native25elementwise_kernel_helperILb0EZZZNS0_12_GLOBAL__N_130modified_bessel_i1_kernel_cudaERNS_18TensorIteratorBaseEENKUlvE_clEvENKUlvE_clEvEUldE_NS0_6memory8policies10vectorizedILi4ESt5arrayIPcLm2EELi4EEEEEvT0_T1_.num_named_barrier, .L_ZN2at6native25elementwise_kernel_helperILb0EZZZNS0_12_GLOBAL__N_130modified_bessel_i1_kernel_cudaERNS_18TensorIteratorBaseEENKUlvE_clEvENKUlvE_clEvEUldE_NS0_6memory8policies11unroll_baseILi256ESt5arrayIPcLm2EE23TrivialOffsetCalculatorILi1EjESF_NS8_15LoadWithoutCastENS8_16StoreWithoutCastELi4ELi1EEEEEvT0_T1_.num_named_barrier)
	.set _ZN2at6native29vectorized_elementwise_kernelILi8EZZZNS0_12_GLOBAL__N_130modified_bessel_i1_kernel_cudaERNS_18TensorIteratorBaseEENKUlvE_clEvENKUlvE_clEvEUldE_St5arrayIPcLm2EEEEviT0_T1_.private_seg_size, 0+max(.L_ZN2at6native25elementwise_kernel_helperILb0EZZZNS0_12_GLOBAL__N_130modified_bessel_i1_kernel_cudaERNS_18TensorIteratorBaseEENKUlvE_clEvENKUlvE_clEvEUldE_NS0_6memory8policies10vectorizedILi4ESt5arrayIPcLm2EELi4EEEEEvT0_T1_.private_seg_size, .L_ZN2at6native25elementwise_kernel_helperILb0EZZZNS0_12_GLOBAL__N_130modified_bessel_i1_kernel_cudaERNS_18TensorIteratorBaseEENKUlvE_clEvENKUlvE_clEvEUldE_NS0_6memory8policies11unroll_baseILi256ESt5arrayIPcLm2EE23TrivialOffsetCalculatorILi1EjESF_NS8_15LoadWithoutCastENS8_16StoreWithoutCastELi4ELi1EEEEEvT0_T1_.private_seg_size)
	.set _ZN2at6native29vectorized_elementwise_kernelILi8EZZZNS0_12_GLOBAL__N_130modified_bessel_i1_kernel_cudaERNS_18TensorIteratorBaseEENKUlvE_clEvENKUlvE_clEvEUldE_St5arrayIPcLm2EEEEviT0_T1_.uses_vcc, or(1, .L_ZN2at6native25elementwise_kernel_helperILb0EZZZNS0_12_GLOBAL__N_130modified_bessel_i1_kernel_cudaERNS_18TensorIteratorBaseEENKUlvE_clEvENKUlvE_clEvEUldE_NS0_6memory8policies10vectorizedILi4ESt5arrayIPcLm2EELi4EEEEEvT0_T1_.uses_vcc, .L_ZN2at6native25elementwise_kernel_helperILb0EZZZNS0_12_GLOBAL__N_130modified_bessel_i1_kernel_cudaERNS_18TensorIteratorBaseEENKUlvE_clEvENKUlvE_clEvEUldE_NS0_6memory8policies11unroll_baseILi256ESt5arrayIPcLm2EE23TrivialOffsetCalculatorILi1EjESF_NS8_15LoadWithoutCastENS8_16StoreWithoutCastELi4ELi1EEEEEvT0_T1_.uses_vcc)
	.set _ZN2at6native29vectorized_elementwise_kernelILi8EZZZNS0_12_GLOBAL__N_130modified_bessel_i1_kernel_cudaERNS_18TensorIteratorBaseEENKUlvE_clEvENKUlvE_clEvEUldE_St5arrayIPcLm2EEEEviT0_T1_.uses_flat_scratch, or(0, .L_ZN2at6native25elementwise_kernel_helperILb0EZZZNS0_12_GLOBAL__N_130modified_bessel_i1_kernel_cudaERNS_18TensorIteratorBaseEENKUlvE_clEvENKUlvE_clEvEUldE_NS0_6memory8policies10vectorizedILi4ESt5arrayIPcLm2EELi4EEEEEvT0_T1_.uses_flat_scratch, .L_ZN2at6native25elementwise_kernel_helperILb0EZZZNS0_12_GLOBAL__N_130modified_bessel_i1_kernel_cudaERNS_18TensorIteratorBaseEENKUlvE_clEvENKUlvE_clEvEUldE_NS0_6memory8policies11unroll_baseILi256ESt5arrayIPcLm2EE23TrivialOffsetCalculatorILi1EjESF_NS8_15LoadWithoutCastENS8_16StoreWithoutCastELi4ELi1EEEEEvT0_T1_.uses_flat_scratch)
	.set _ZN2at6native29vectorized_elementwise_kernelILi8EZZZNS0_12_GLOBAL__N_130modified_bessel_i1_kernel_cudaERNS_18TensorIteratorBaseEENKUlvE_clEvENKUlvE_clEvEUldE_St5arrayIPcLm2EEEEviT0_T1_.has_dyn_sized_stack, or(0, .L_ZN2at6native25elementwise_kernel_helperILb0EZZZNS0_12_GLOBAL__N_130modified_bessel_i1_kernel_cudaERNS_18TensorIteratorBaseEENKUlvE_clEvENKUlvE_clEvEUldE_NS0_6memory8policies10vectorizedILi4ESt5arrayIPcLm2EELi4EEEEEvT0_T1_.has_dyn_sized_stack, .L_ZN2at6native25elementwise_kernel_helperILb0EZZZNS0_12_GLOBAL__N_130modified_bessel_i1_kernel_cudaERNS_18TensorIteratorBaseEENKUlvE_clEvENKUlvE_clEvEUldE_NS0_6memory8policies11unroll_baseILi256ESt5arrayIPcLm2EE23TrivialOffsetCalculatorILi1EjESF_NS8_15LoadWithoutCastENS8_16StoreWithoutCastELi4ELi1EEEEEvT0_T1_.has_dyn_sized_stack)
	.set _ZN2at6native29vectorized_elementwise_kernelILi8EZZZNS0_12_GLOBAL__N_130modified_bessel_i1_kernel_cudaERNS_18TensorIteratorBaseEENKUlvE_clEvENKUlvE_clEvEUldE_St5arrayIPcLm2EEEEviT0_T1_.has_recursion, or(0, .L_ZN2at6native25elementwise_kernel_helperILb0EZZZNS0_12_GLOBAL__N_130modified_bessel_i1_kernel_cudaERNS_18TensorIteratorBaseEENKUlvE_clEvENKUlvE_clEvEUldE_NS0_6memory8policies10vectorizedILi4ESt5arrayIPcLm2EELi4EEEEEvT0_T1_.has_recursion, .L_ZN2at6native25elementwise_kernel_helperILb0EZZZNS0_12_GLOBAL__N_130modified_bessel_i1_kernel_cudaERNS_18TensorIteratorBaseEENKUlvE_clEvENKUlvE_clEvEUldE_NS0_6memory8policies11unroll_baseILi256ESt5arrayIPcLm2EE23TrivialOffsetCalculatorILi1EjESF_NS8_15LoadWithoutCastENS8_16StoreWithoutCastELi4ELi1EEEEEvT0_T1_.has_recursion)
	.set _ZN2at6native29vectorized_elementwise_kernelILi8EZZZNS0_12_GLOBAL__N_130modified_bessel_i1_kernel_cudaERNS_18TensorIteratorBaseEENKUlvE_clEvENKUlvE_clEvEUldE_St5arrayIPcLm2EEEEviT0_T1_.has_indirect_call, or(0, .L_ZN2at6native25elementwise_kernel_helperILb0EZZZNS0_12_GLOBAL__N_130modified_bessel_i1_kernel_cudaERNS_18TensorIteratorBaseEENKUlvE_clEvENKUlvE_clEvEUldE_NS0_6memory8policies10vectorizedILi4ESt5arrayIPcLm2EELi4EEEEEvT0_T1_.has_indirect_call, .L_ZN2at6native25elementwise_kernel_helperILb0EZZZNS0_12_GLOBAL__N_130modified_bessel_i1_kernel_cudaERNS_18TensorIteratorBaseEENKUlvE_clEvENKUlvE_clEvEUldE_NS0_6memory8policies11unroll_baseILi256ESt5arrayIPcLm2EE23TrivialOffsetCalculatorILi1EjESF_NS8_15LoadWithoutCastENS8_16StoreWithoutCastELi4ELi1EEEEEvT0_T1_.has_indirect_call)
	.section	.AMDGPU.csdata,"",@progbits
; Kernel info:
; codeLenInByte = 156
; TotalNumSgprs: 39
; NumVgprs: 32
; NumAgprs: 0
; TotalNumVgprs: 32
; ScratchSize: 0
; MemoryBound: 0
; FloatMode: 240
; IeeeMode: 1
; LDSByteSize: 0 bytes/workgroup (compile time only)
; SGPRBlocks: 4
; VGPRBlocks: 3
; NumSGPRsForWavesPerEU: 39
; NumVGPRsForWavesPerEU: 32
; AccumOffset: 32
; Occupancy: 8
; WaveLimiterHint : 0
; COMPUTE_PGM_RSRC2:SCRATCH_EN: 0
; COMPUTE_PGM_RSRC2:USER_SGPR: 2
; COMPUTE_PGM_RSRC2:TRAP_HANDLER: 0
; COMPUTE_PGM_RSRC2:TGID_X_EN: 1
; COMPUTE_PGM_RSRC2:TGID_Y_EN: 0
; COMPUTE_PGM_RSRC2:TGID_Z_EN: 0
; COMPUTE_PGM_RSRC2:TIDIG_COMP_CNT: 0
; COMPUTE_PGM_RSRC3_GFX90A:ACCUM_OFFSET: 7
; COMPUTE_PGM_RSRC3_GFX90A:TG_SPLIT: 0
	.section	.text._ZN2at6native29vectorized_elementwise_kernelILi4EZZZNS0_12_GLOBAL__N_130modified_bessel_i1_kernel_cudaERNS_18TensorIteratorBaseEENKUlvE_clEvENKUlvE_clEvEUldE_St5arrayIPcLm2EEEEviT0_T1_,"axG",@progbits,_ZN2at6native29vectorized_elementwise_kernelILi4EZZZNS0_12_GLOBAL__N_130modified_bessel_i1_kernel_cudaERNS_18TensorIteratorBaseEENKUlvE_clEvENKUlvE_clEvEUldE_St5arrayIPcLm2EEEEviT0_T1_,comdat
	.globl	_ZN2at6native29vectorized_elementwise_kernelILi4EZZZNS0_12_GLOBAL__N_130modified_bessel_i1_kernel_cudaERNS_18TensorIteratorBaseEENKUlvE_clEvENKUlvE_clEvEUldE_St5arrayIPcLm2EEEEviT0_T1_ ; -- Begin function _ZN2at6native29vectorized_elementwise_kernelILi4EZZZNS0_12_GLOBAL__N_130modified_bessel_i1_kernel_cudaERNS_18TensorIteratorBaseEENKUlvE_clEvENKUlvE_clEvEUldE_St5arrayIPcLm2EEEEviT0_T1_
	.p2align	8
	.type	_ZN2at6native29vectorized_elementwise_kernelILi4EZZZNS0_12_GLOBAL__N_130modified_bessel_i1_kernel_cudaERNS_18TensorIteratorBaseEENKUlvE_clEvENKUlvE_clEvEUldE_St5arrayIPcLm2EEEEviT0_T1_,@function
_ZN2at6native29vectorized_elementwise_kernelILi4EZZZNS0_12_GLOBAL__N_130modified_bessel_i1_kernel_cudaERNS_18TensorIteratorBaseEENKUlvE_clEvENKUlvE_clEvEUldE_St5arrayIPcLm2EEEEviT0_T1_: ; @_ZN2at6native29vectorized_elementwise_kernelILi4EZZZNS0_12_GLOBAL__N_130modified_bessel_i1_kernel_cudaERNS_18TensorIteratorBaseEENKUlvE_clEvENKUlvE_clEvEUldE_St5arrayIPcLm2EEEEviT0_T1_
; %bb.0:
	s_mov_b32 s12, s2
	s_load_dword s2, s[0:1], 0x0
	s_load_dwordx4 s[8:11], s[0:1], 0x8
	s_lshl_b32 s0, s12, 10
	v_mov_b32_e32 v31, v0
	s_mov_b32 s32, 0
	s_waitcnt lgkmcnt(0)
	s_sub_i32 s13, s2, s0
	s_cmpk_gt_i32 s13, 0x3ff
	s_mov_b64 s[0:1], -1
	s_cbranch_scc1 .LBB4_3
; %bb.1:
	s_andn2_b64 vcc, exec, s[0:1]
	s_cbranch_vccz .LBB4_4
.LBB4_2:
	s_endpgm
.LBB4_3:
	s_getpc_b64 s[0:1]
	s_add_u32 s0, s0, _ZN2at6native25elementwise_kernel_helperILb0EZZZNS0_12_GLOBAL__N_130modified_bessel_i1_kernel_cudaERNS_18TensorIteratorBaseEENKUlvE_clEvENKUlvE_clEvEUldE_NS0_6memory8policies10vectorizedILi4ESt5arrayIPcLm2EELi4EEEEEvT0_T1_@rel32@lo+4
	s_addc_u32 s1, s1, _ZN2at6native25elementwise_kernel_helperILb0EZZZNS0_12_GLOBAL__N_130modified_bessel_i1_kernel_cudaERNS_18TensorIteratorBaseEENKUlvE_clEvENKUlvE_clEvEUldE_NS0_6memory8policies10vectorizedILi4ESt5arrayIPcLm2EELi4EEEEEvT0_T1_@rel32@hi+12
	v_mov_b32_e32 v0, s8
	v_mov_b32_e32 v1, s9
	;; [unrolled: 1-line block ×4, first 2 shown]
	s_swappc_b64 s[30:31], s[0:1]
	s_cbranch_execnz .LBB4_2
.LBB4_4:
	s_getpc_b64 s[0:1]
	s_add_u32 s0, s0, _ZN2at6native25elementwise_kernel_helperILb0EZZZNS0_12_GLOBAL__N_130modified_bessel_i1_kernel_cudaERNS_18TensorIteratorBaseEENKUlvE_clEvENKUlvE_clEvEUldE_NS0_6memory8policies11unroll_baseILi256ESt5arrayIPcLm2EE23TrivialOffsetCalculatorILi1EjESF_NS8_15LoadWithoutCastENS8_16StoreWithoutCastELi4ELi1EEEEEvT0_T1_@rel32@lo+4
	s_addc_u32 s1, s1, _ZN2at6native25elementwise_kernel_helperILb0EZZZNS0_12_GLOBAL__N_130modified_bessel_i1_kernel_cudaERNS_18TensorIteratorBaseEENKUlvE_clEvENKUlvE_clEvEUldE_NS0_6memory8policies11unroll_baseILi256ESt5arrayIPcLm2EE23TrivialOffsetCalculatorILi1EjESF_NS8_15LoadWithoutCastENS8_16StoreWithoutCastELi4ELi1EEEEEvT0_T1_@rel32@hi+12
	v_mov_b32_e32 v0, s8
	v_mov_b32_e32 v1, s9
	;; [unrolled: 1-line block ×5, first 2 shown]
	s_swappc_b64 s[30:31], s[0:1]
	s_endpgm
	.section	.rodata,"a",@progbits
	.p2align	6, 0x0
	.amdhsa_kernel _ZN2at6native29vectorized_elementwise_kernelILi4EZZZNS0_12_GLOBAL__N_130modified_bessel_i1_kernel_cudaERNS_18TensorIteratorBaseEENKUlvE_clEvENKUlvE_clEvEUldE_St5arrayIPcLm2EEEEviT0_T1_
		.amdhsa_group_segment_fixed_size 0
		.amdhsa_private_segment_fixed_size 0
		.amdhsa_kernarg_size 24
		.amdhsa_user_sgpr_count 2
		.amdhsa_user_sgpr_dispatch_ptr 0
		.amdhsa_user_sgpr_queue_ptr 0
		.amdhsa_user_sgpr_kernarg_segment_ptr 1
		.amdhsa_user_sgpr_dispatch_id 0
		.amdhsa_user_sgpr_kernarg_preload_length 0
		.amdhsa_user_sgpr_kernarg_preload_offset 0
		.amdhsa_user_sgpr_private_segment_size 0
		.amdhsa_uses_dynamic_stack 0
		.amdhsa_enable_private_segment 0
		.amdhsa_system_sgpr_workgroup_id_x 1
		.amdhsa_system_sgpr_workgroup_id_y 0
		.amdhsa_system_sgpr_workgroup_id_z 0
		.amdhsa_system_sgpr_workgroup_info 0
		.amdhsa_system_vgpr_workitem_id 0
		.amdhsa_next_free_vgpr 32
		.amdhsa_next_free_sgpr 33
		.amdhsa_accum_offset 32
		.amdhsa_reserve_vcc 1
		.amdhsa_float_round_mode_32 0
		.amdhsa_float_round_mode_16_64 0
		.amdhsa_float_denorm_mode_32 3
		.amdhsa_float_denorm_mode_16_64 3
		.amdhsa_dx10_clamp 1
		.amdhsa_ieee_mode 1
		.amdhsa_fp16_overflow 0
		.amdhsa_tg_split 0
		.amdhsa_exception_fp_ieee_invalid_op 0
		.amdhsa_exception_fp_denorm_src 0
		.amdhsa_exception_fp_ieee_div_zero 0
		.amdhsa_exception_fp_ieee_overflow 0
		.amdhsa_exception_fp_ieee_underflow 0
		.amdhsa_exception_fp_ieee_inexact 0
		.amdhsa_exception_int_div_zero 0
	.end_amdhsa_kernel
	.section	.text._ZN2at6native29vectorized_elementwise_kernelILi4EZZZNS0_12_GLOBAL__N_130modified_bessel_i1_kernel_cudaERNS_18TensorIteratorBaseEENKUlvE_clEvENKUlvE_clEvEUldE_St5arrayIPcLm2EEEEviT0_T1_,"axG",@progbits,_ZN2at6native29vectorized_elementwise_kernelILi4EZZZNS0_12_GLOBAL__N_130modified_bessel_i1_kernel_cudaERNS_18TensorIteratorBaseEENKUlvE_clEvENKUlvE_clEvEUldE_St5arrayIPcLm2EEEEviT0_T1_,comdat
.Lfunc_end4:
	.size	_ZN2at6native29vectorized_elementwise_kernelILi4EZZZNS0_12_GLOBAL__N_130modified_bessel_i1_kernel_cudaERNS_18TensorIteratorBaseEENKUlvE_clEvENKUlvE_clEvEUldE_St5arrayIPcLm2EEEEviT0_T1_, .Lfunc_end4-_ZN2at6native29vectorized_elementwise_kernelILi4EZZZNS0_12_GLOBAL__N_130modified_bessel_i1_kernel_cudaERNS_18TensorIteratorBaseEENKUlvE_clEvENKUlvE_clEvEUldE_St5arrayIPcLm2EEEEviT0_T1_
                                        ; -- End function
	.set _ZN2at6native29vectorized_elementwise_kernelILi4EZZZNS0_12_GLOBAL__N_130modified_bessel_i1_kernel_cudaERNS_18TensorIteratorBaseEENKUlvE_clEvENKUlvE_clEvEUldE_St5arrayIPcLm2EEEEviT0_T1_.num_vgpr, max(32, .L_ZN2at6native25elementwise_kernel_helperILb0EZZZNS0_12_GLOBAL__N_130modified_bessel_i1_kernel_cudaERNS_18TensorIteratorBaseEENKUlvE_clEvENKUlvE_clEvEUldE_NS0_6memory8policies10vectorizedILi4ESt5arrayIPcLm2EELi4EEEEEvT0_T1_.num_vgpr, .L_ZN2at6native25elementwise_kernel_helperILb0EZZZNS0_12_GLOBAL__N_130modified_bessel_i1_kernel_cudaERNS_18TensorIteratorBaseEENKUlvE_clEvENKUlvE_clEvEUldE_NS0_6memory8policies11unroll_baseILi256ESt5arrayIPcLm2EE23TrivialOffsetCalculatorILi1EjESF_NS8_15LoadWithoutCastENS8_16StoreWithoutCastELi4ELi1EEEEEvT0_T1_.num_vgpr)
	.set _ZN2at6native29vectorized_elementwise_kernelILi4EZZZNS0_12_GLOBAL__N_130modified_bessel_i1_kernel_cudaERNS_18TensorIteratorBaseEENKUlvE_clEvENKUlvE_clEvEUldE_St5arrayIPcLm2EEEEviT0_T1_.num_agpr, max(0, .L_ZN2at6native25elementwise_kernel_helperILb0EZZZNS0_12_GLOBAL__N_130modified_bessel_i1_kernel_cudaERNS_18TensorIteratorBaseEENKUlvE_clEvENKUlvE_clEvEUldE_NS0_6memory8policies10vectorizedILi4ESt5arrayIPcLm2EELi4EEEEEvT0_T1_.num_agpr, .L_ZN2at6native25elementwise_kernel_helperILb0EZZZNS0_12_GLOBAL__N_130modified_bessel_i1_kernel_cudaERNS_18TensorIteratorBaseEENKUlvE_clEvENKUlvE_clEvEUldE_NS0_6memory8policies11unroll_baseILi256ESt5arrayIPcLm2EE23TrivialOffsetCalculatorILi1EjESF_NS8_15LoadWithoutCastENS8_16StoreWithoutCastELi4ELi1EEEEEvT0_T1_.num_agpr)
	.set _ZN2at6native29vectorized_elementwise_kernelILi4EZZZNS0_12_GLOBAL__N_130modified_bessel_i1_kernel_cudaERNS_18TensorIteratorBaseEENKUlvE_clEvENKUlvE_clEvEUldE_St5arrayIPcLm2EEEEviT0_T1_.numbered_sgpr, max(33, .L_ZN2at6native25elementwise_kernel_helperILb0EZZZNS0_12_GLOBAL__N_130modified_bessel_i1_kernel_cudaERNS_18TensorIteratorBaseEENKUlvE_clEvENKUlvE_clEvEUldE_NS0_6memory8policies10vectorizedILi4ESt5arrayIPcLm2EELi4EEEEEvT0_T1_.numbered_sgpr, .L_ZN2at6native25elementwise_kernel_helperILb0EZZZNS0_12_GLOBAL__N_130modified_bessel_i1_kernel_cudaERNS_18TensorIteratorBaseEENKUlvE_clEvENKUlvE_clEvEUldE_NS0_6memory8policies11unroll_baseILi256ESt5arrayIPcLm2EE23TrivialOffsetCalculatorILi1EjESF_NS8_15LoadWithoutCastENS8_16StoreWithoutCastELi4ELi1EEEEEvT0_T1_.numbered_sgpr)
	.set _ZN2at6native29vectorized_elementwise_kernelILi4EZZZNS0_12_GLOBAL__N_130modified_bessel_i1_kernel_cudaERNS_18TensorIteratorBaseEENKUlvE_clEvENKUlvE_clEvEUldE_St5arrayIPcLm2EEEEviT0_T1_.num_named_barrier, max(0, .L_ZN2at6native25elementwise_kernel_helperILb0EZZZNS0_12_GLOBAL__N_130modified_bessel_i1_kernel_cudaERNS_18TensorIteratorBaseEENKUlvE_clEvENKUlvE_clEvEUldE_NS0_6memory8policies10vectorizedILi4ESt5arrayIPcLm2EELi4EEEEEvT0_T1_.num_named_barrier, .L_ZN2at6native25elementwise_kernel_helperILb0EZZZNS0_12_GLOBAL__N_130modified_bessel_i1_kernel_cudaERNS_18TensorIteratorBaseEENKUlvE_clEvENKUlvE_clEvEUldE_NS0_6memory8policies11unroll_baseILi256ESt5arrayIPcLm2EE23TrivialOffsetCalculatorILi1EjESF_NS8_15LoadWithoutCastENS8_16StoreWithoutCastELi4ELi1EEEEEvT0_T1_.num_named_barrier)
	.set _ZN2at6native29vectorized_elementwise_kernelILi4EZZZNS0_12_GLOBAL__N_130modified_bessel_i1_kernel_cudaERNS_18TensorIteratorBaseEENKUlvE_clEvENKUlvE_clEvEUldE_St5arrayIPcLm2EEEEviT0_T1_.private_seg_size, 0+max(.L_ZN2at6native25elementwise_kernel_helperILb0EZZZNS0_12_GLOBAL__N_130modified_bessel_i1_kernel_cudaERNS_18TensorIteratorBaseEENKUlvE_clEvENKUlvE_clEvEUldE_NS0_6memory8policies10vectorizedILi4ESt5arrayIPcLm2EELi4EEEEEvT0_T1_.private_seg_size, .L_ZN2at6native25elementwise_kernel_helperILb0EZZZNS0_12_GLOBAL__N_130modified_bessel_i1_kernel_cudaERNS_18TensorIteratorBaseEENKUlvE_clEvENKUlvE_clEvEUldE_NS0_6memory8policies11unroll_baseILi256ESt5arrayIPcLm2EE23TrivialOffsetCalculatorILi1EjESF_NS8_15LoadWithoutCastENS8_16StoreWithoutCastELi4ELi1EEEEEvT0_T1_.private_seg_size)
	.set _ZN2at6native29vectorized_elementwise_kernelILi4EZZZNS0_12_GLOBAL__N_130modified_bessel_i1_kernel_cudaERNS_18TensorIteratorBaseEENKUlvE_clEvENKUlvE_clEvEUldE_St5arrayIPcLm2EEEEviT0_T1_.uses_vcc, or(1, .L_ZN2at6native25elementwise_kernel_helperILb0EZZZNS0_12_GLOBAL__N_130modified_bessel_i1_kernel_cudaERNS_18TensorIteratorBaseEENKUlvE_clEvENKUlvE_clEvEUldE_NS0_6memory8policies10vectorizedILi4ESt5arrayIPcLm2EELi4EEEEEvT0_T1_.uses_vcc, .L_ZN2at6native25elementwise_kernel_helperILb0EZZZNS0_12_GLOBAL__N_130modified_bessel_i1_kernel_cudaERNS_18TensorIteratorBaseEENKUlvE_clEvENKUlvE_clEvEUldE_NS0_6memory8policies11unroll_baseILi256ESt5arrayIPcLm2EE23TrivialOffsetCalculatorILi1EjESF_NS8_15LoadWithoutCastENS8_16StoreWithoutCastELi4ELi1EEEEEvT0_T1_.uses_vcc)
	.set _ZN2at6native29vectorized_elementwise_kernelILi4EZZZNS0_12_GLOBAL__N_130modified_bessel_i1_kernel_cudaERNS_18TensorIteratorBaseEENKUlvE_clEvENKUlvE_clEvEUldE_St5arrayIPcLm2EEEEviT0_T1_.uses_flat_scratch, or(0, .L_ZN2at6native25elementwise_kernel_helperILb0EZZZNS0_12_GLOBAL__N_130modified_bessel_i1_kernel_cudaERNS_18TensorIteratorBaseEENKUlvE_clEvENKUlvE_clEvEUldE_NS0_6memory8policies10vectorizedILi4ESt5arrayIPcLm2EELi4EEEEEvT0_T1_.uses_flat_scratch, .L_ZN2at6native25elementwise_kernel_helperILb0EZZZNS0_12_GLOBAL__N_130modified_bessel_i1_kernel_cudaERNS_18TensorIteratorBaseEENKUlvE_clEvENKUlvE_clEvEUldE_NS0_6memory8policies11unroll_baseILi256ESt5arrayIPcLm2EE23TrivialOffsetCalculatorILi1EjESF_NS8_15LoadWithoutCastENS8_16StoreWithoutCastELi4ELi1EEEEEvT0_T1_.uses_flat_scratch)
	.set _ZN2at6native29vectorized_elementwise_kernelILi4EZZZNS0_12_GLOBAL__N_130modified_bessel_i1_kernel_cudaERNS_18TensorIteratorBaseEENKUlvE_clEvENKUlvE_clEvEUldE_St5arrayIPcLm2EEEEviT0_T1_.has_dyn_sized_stack, or(0, .L_ZN2at6native25elementwise_kernel_helperILb0EZZZNS0_12_GLOBAL__N_130modified_bessel_i1_kernel_cudaERNS_18TensorIteratorBaseEENKUlvE_clEvENKUlvE_clEvEUldE_NS0_6memory8policies10vectorizedILi4ESt5arrayIPcLm2EELi4EEEEEvT0_T1_.has_dyn_sized_stack, .L_ZN2at6native25elementwise_kernel_helperILb0EZZZNS0_12_GLOBAL__N_130modified_bessel_i1_kernel_cudaERNS_18TensorIteratorBaseEENKUlvE_clEvENKUlvE_clEvEUldE_NS0_6memory8policies11unroll_baseILi256ESt5arrayIPcLm2EE23TrivialOffsetCalculatorILi1EjESF_NS8_15LoadWithoutCastENS8_16StoreWithoutCastELi4ELi1EEEEEvT0_T1_.has_dyn_sized_stack)
	.set _ZN2at6native29vectorized_elementwise_kernelILi4EZZZNS0_12_GLOBAL__N_130modified_bessel_i1_kernel_cudaERNS_18TensorIteratorBaseEENKUlvE_clEvENKUlvE_clEvEUldE_St5arrayIPcLm2EEEEviT0_T1_.has_recursion, or(0, .L_ZN2at6native25elementwise_kernel_helperILb0EZZZNS0_12_GLOBAL__N_130modified_bessel_i1_kernel_cudaERNS_18TensorIteratorBaseEENKUlvE_clEvENKUlvE_clEvEUldE_NS0_6memory8policies10vectorizedILi4ESt5arrayIPcLm2EELi4EEEEEvT0_T1_.has_recursion, .L_ZN2at6native25elementwise_kernel_helperILb0EZZZNS0_12_GLOBAL__N_130modified_bessel_i1_kernel_cudaERNS_18TensorIteratorBaseEENKUlvE_clEvENKUlvE_clEvEUldE_NS0_6memory8policies11unroll_baseILi256ESt5arrayIPcLm2EE23TrivialOffsetCalculatorILi1EjESF_NS8_15LoadWithoutCastENS8_16StoreWithoutCastELi4ELi1EEEEEvT0_T1_.has_recursion)
	.set _ZN2at6native29vectorized_elementwise_kernelILi4EZZZNS0_12_GLOBAL__N_130modified_bessel_i1_kernel_cudaERNS_18TensorIteratorBaseEENKUlvE_clEvENKUlvE_clEvEUldE_St5arrayIPcLm2EEEEviT0_T1_.has_indirect_call, or(0, .L_ZN2at6native25elementwise_kernel_helperILb0EZZZNS0_12_GLOBAL__N_130modified_bessel_i1_kernel_cudaERNS_18TensorIteratorBaseEENKUlvE_clEvENKUlvE_clEvEUldE_NS0_6memory8policies10vectorizedILi4ESt5arrayIPcLm2EELi4EEEEEvT0_T1_.has_indirect_call, .L_ZN2at6native25elementwise_kernel_helperILb0EZZZNS0_12_GLOBAL__N_130modified_bessel_i1_kernel_cudaERNS_18TensorIteratorBaseEENKUlvE_clEvENKUlvE_clEvEUldE_NS0_6memory8policies11unroll_baseILi256ESt5arrayIPcLm2EE23TrivialOffsetCalculatorILi1EjESF_NS8_15LoadWithoutCastENS8_16StoreWithoutCastELi4ELi1EEEEEvT0_T1_.has_indirect_call)
	.section	.AMDGPU.csdata,"",@progbits
; Kernel info:
; codeLenInByte = 156
; TotalNumSgprs: 39
; NumVgprs: 32
; NumAgprs: 0
; TotalNumVgprs: 32
; ScratchSize: 0
; MemoryBound: 0
; FloatMode: 240
; IeeeMode: 1
; LDSByteSize: 0 bytes/workgroup (compile time only)
; SGPRBlocks: 4
; VGPRBlocks: 3
; NumSGPRsForWavesPerEU: 39
; NumVGPRsForWavesPerEU: 32
; AccumOffset: 32
; Occupancy: 8
; WaveLimiterHint : 0
; COMPUTE_PGM_RSRC2:SCRATCH_EN: 0
; COMPUTE_PGM_RSRC2:USER_SGPR: 2
; COMPUTE_PGM_RSRC2:TRAP_HANDLER: 0
; COMPUTE_PGM_RSRC2:TGID_X_EN: 1
; COMPUTE_PGM_RSRC2:TGID_Y_EN: 0
; COMPUTE_PGM_RSRC2:TGID_Z_EN: 0
; COMPUTE_PGM_RSRC2:TIDIG_COMP_CNT: 0
; COMPUTE_PGM_RSRC3_GFX90A:ACCUM_OFFSET: 7
; COMPUTE_PGM_RSRC3_GFX90A:TG_SPLIT: 0
	.section	.text._ZN2at6native29vectorized_elementwise_kernelILi2EZZZNS0_12_GLOBAL__N_130modified_bessel_i1_kernel_cudaERNS_18TensorIteratorBaseEENKUlvE_clEvENKUlvE_clEvEUldE_St5arrayIPcLm2EEEEviT0_T1_,"axG",@progbits,_ZN2at6native29vectorized_elementwise_kernelILi2EZZZNS0_12_GLOBAL__N_130modified_bessel_i1_kernel_cudaERNS_18TensorIteratorBaseEENKUlvE_clEvENKUlvE_clEvEUldE_St5arrayIPcLm2EEEEviT0_T1_,comdat
	.globl	_ZN2at6native29vectorized_elementwise_kernelILi2EZZZNS0_12_GLOBAL__N_130modified_bessel_i1_kernel_cudaERNS_18TensorIteratorBaseEENKUlvE_clEvENKUlvE_clEvEUldE_St5arrayIPcLm2EEEEviT0_T1_ ; -- Begin function _ZN2at6native29vectorized_elementwise_kernelILi2EZZZNS0_12_GLOBAL__N_130modified_bessel_i1_kernel_cudaERNS_18TensorIteratorBaseEENKUlvE_clEvENKUlvE_clEvEUldE_St5arrayIPcLm2EEEEviT0_T1_
	.p2align	8
	.type	_ZN2at6native29vectorized_elementwise_kernelILi2EZZZNS0_12_GLOBAL__N_130modified_bessel_i1_kernel_cudaERNS_18TensorIteratorBaseEENKUlvE_clEvENKUlvE_clEvEUldE_St5arrayIPcLm2EEEEviT0_T1_,@function
_ZN2at6native29vectorized_elementwise_kernelILi2EZZZNS0_12_GLOBAL__N_130modified_bessel_i1_kernel_cudaERNS_18TensorIteratorBaseEENKUlvE_clEvENKUlvE_clEvEUldE_St5arrayIPcLm2EEEEviT0_T1_: ; @_ZN2at6native29vectorized_elementwise_kernelILi2EZZZNS0_12_GLOBAL__N_130modified_bessel_i1_kernel_cudaERNS_18TensorIteratorBaseEENKUlvE_clEvENKUlvE_clEvEUldE_St5arrayIPcLm2EEEEviT0_T1_
; %bb.0:
	s_load_dword s3, s[0:1], 0x0
	s_load_dwordx4 s[4:7], s[0:1], 0x8
	s_lshl_b32 s0, s2, 10
	s_mov_b64 s[8:9], -1
	s_mov_b32 s32, 0
	s_waitcnt lgkmcnt(0)
	s_sub_i32 s3, s3, s0
	s_cmpk_gt_i32 s3, 0x3ff
	s_cbranch_scc1 .LBB5_3
; %bb.1:
	s_and_b64 vcc, exec, s[8:9]
	s_cbranch_vccnz .LBB5_52
.LBB5_2:
	s_endpgm
.LBB5_3:
	s_ashr_i32 s1, s0, 31
	s_lshl_b64 s[8:9], s[0:1], 3
	s_add_u32 s0, s6, s8
	s_addc_u32 s1, s7, s9
	v_mov_b32_e32 v15, 0
	v_lshlrev_b32_e32 v14, 4, v0
	v_lshl_add_u64 v[2:3], s[0:1], 0, v[14:15]
	v_add_co_u32_e32 v6, vcc, 0x1000, v2
	s_nop 1
	v_addc_co_u32_e32 v7, vcc, 0, v3, vcc
	global_load_dwordx4 v[8:11], v14, s[0:1]
	global_load_dwordx4 v[2:5], v[6:7], off
	s_mov_b32 s0, 0
	s_mov_b32 s1, 0x40200000
                                        ; implicit-def: $vgpr6_vgpr7
	s_waitcnt vmcnt(1)
	v_cmp_le_f64_e64 s[0:1], |v[8:9]|, s[0:1]
	s_and_saveexec_b64 s[10:11], s[0:1]
	s_xor_b64 s[0:1], exec, s[10:11]
	s_cbranch_execz .LBB5_9
; %bb.4:
	s_mov_b32 s10, 0xc3c4014
	v_fma_f64 v[6:7], |v[8:9]|, 0.5, -2.0
	v_mov_b32_e32 v12, 0xc38a0576
	v_mov_b32_e32 v13, 0xbc7857d0
	s_mov_b32 s11, 0x3c499f2a
	v_fmac_f64_e32 v[12:13], s[10:11], v[6:7]
	v_mov_b32_e32 v16, 0xc3c4014
	v_mov_b32_e32 v17, 0xbc499f2a
	s_mov_b32 s10, 0xe593bfac
	v_fmac_f64_e32 v[16:17], v[6:7], v[12:13]
	s_mov_b32 s11, 0x3ca663e3
	v_add_f64 v[16:17], v[16:17], s[10:11]
	s_mov_b32 s10, 0x7e0d1573
	v_fma_f64 v[12:13], v[6:7], v[16:17], -v[12:13]
	s_mov_b32 s11, 0xbcd3eaaa
	v_add_f64 v[12:13], v[12:13], s[10:11]
	s_mov_b32 s10, 0x615290c
	v_fma_f64 v[16:17], v[6:7], v[12:13], -v[16:17]
	s_mov_b32 s11, 0x3d011d7f
	v_add_f64 v[16:17], v[16:17], s[10:11]
	s_mov_b32 s10, 0x1c8f0b3b
	v_fma_f64 v[12:13], v[6:7], v[16:17], -v[12:13]
	s_mov_b32 s11, 0xbd2c628e
	v_add_f64 v[12:13], v[12:13], s[10:11]
	s_mov_b32 s10, 0x4779d955
	v_fma_f64 v[16:17], v[6:7], v[12:13], -v[16:17]
	s_mov_b32 s11, 0x3d56af78
	v_add_f64 v[16:17], v[16:17], s[10:11]
	s_mov_b32 s10, 0x5fb70366
	v_fma_f64 v[12:13], v[6:7], v[16:17], -v[12:13]
	s_mov_b32 s11, 0xbd817383
	v_add_f64 v[12:13], v[12:13], s[10:11]
	s_mov_b32 s10, 0xb21d3154
	v_fma_f64 v[16:17], v[6:7], v[12:13], -v[16:17]
	s_mov_b32 s11, 0x3da9cee2
	v_add_f64 v[16:17], v[16:17], s[10:11]
	s_mov_b32 s10, 0x97eb07de
	v_fma_f64 v[12:13], v[6:7], v[16:17], -v[12:13]
	s_mov_b32 s11, 0xbdd25103
	v_add_f64 v[12:13], v[12:13], s[10:11]
	s_mov_b32 s10, 0xb43fdf6c
	v_fma_f64 v[16:17], v[6:7], v[12:13], -v[16:17]
	s_mov_b32 s11, 0x3df8ea34
	v_add_f64 v[16:17], v[16:17], s[10:11]
	s_mov_b32 s10, 0x28ea67e6
	v_fma_f64 v[12:13], v[6:7], v[16:17], -v[12:13]
	s_mov_b32 s11, 0xbe20361b
	v_add_f64 v[12:13], v[12:13], s[10:11]
	s_mov_b32 s10, 0x2395010
	v_fma_f64 v[16:17], v[6:7], v[12:13], -v[16:17]
	s_mov_b32 s11, 0x3e44258e
	v_add_f64 v[16:17], v[16:17], s[10:11]
	s_mov_b32 s10, 0x24b8c3e8
	v_fma_f64 v[12:13], v[6:7], v[16:17], -v[12:13]
	s_mov_b32 s11, 0xbe67dd3e
	v_add_f64 v[12:13], v[12:13], s[10:11]
	s_mov_b32 s10, 0xb347d108
	v_fma_f64 v[16:17], v[6:7], v[12:13], -v[16:17]
	s_mov_b32 s11, 0x3e8ae344
	v_add_f64 v[16:17], v[16:17], s[10:11]
	s_mov_b32 s10, 0x8363992a
	v_fma_f64 v[12:13], v[6:7], v[16:17], -v[12:13]
	s_mov_b32 s11, 0xbeacc079
	v_add_f64 v[12:13], v[12:13], s[10:11]
	s_mov_b32 s10, 0xd511afc5
	v_fma_f64 v[16:17], v[6:7], v[12:13], -v[16:17]
	s_mov_b32 s11, 0x3ecd1c4e
	v_add_f64 v[16:17], v[16:17], s[10:11]
	s_mov_b32 s10, 0xb8debbcf
	v_fma_f64 v[12:13], v[6:7], v[16:17], -v[12:13]
	s_mov_b32 s11, 0xbeebd5f9
	v_add_f64 v[12:13], v[12:13], s[10:11]
	s_mov_b32 s10, 0x42c70d0b
	v_fma_f64 v[16:17], v[6:7], v[12:13], -v[16:17]
	s_mov_b32 s11, 0x3f0911b5
	v_add_f64 v[16:17], v[16:17], s[10:11]
	s_mov_b32 s10, 0xd3d694fe
	v_fma_f64 v[12:13], v[6:7], v[16:17], -v[12:13]
	s_mov_b32 s11, 0xbf2533ca
	v_add_f64 v[12:13], v[12:13], s[10:11]
	s_mov_b32 s10, 0xb6c6df7d
	v_fma_f64 v[16:17], v[6:7], v[12:13], -v[16:17]
	s_mov_b32 s11, 0x3f40c95d
	v_add_f64 v[16:17], v[16:17], s[10:11]
	s_mov_b32 s10, 0xb3cd4a4
	v_fma_f64 v[12:13], v[6:7], v[16:17], -v[12:13]
	s_mov_b32 s11, 0xbf58cc62
	v_add_f64 v[12:13], v[12:13], s[10:11]
	s_mov_b32 s10, 0x49d3a1b4
	v_fma_f64 v[16:17], v[6:7], v[12:13], -v[16:17]
	s_mov_b32 s11, 0x3f710653
	v_add_f64 v[16:17], v[16:17], s[10:11]
	s_mov_b32 s10, 0x7913a26a
	v_fma_f64 v[12:13], v[6:7], v[16:17], -v[12:13]
	s_mov_b32 s11, 0xbf85a29f
	v_add_f64 v[12:13], v[12:13], s[10:11]
	s_mov_b32 s10, 0xe7bb2349
	v_fma_f64 v[16:17], v[6:7], v[12:13], -v[16:17]
	s_mov_b32 s11, 0x3f9951e3
	v_add_f64 v[16:17], v[16:17], s[10:11]
	s_mov_b32 s10, 0x537c9ebc
	v_fma_f64 v[12:13], v[6:7], v[16:17], -v[12:13]
	s_mov_b32 s11, 0xbfab1bbc
	v_add_f64 v[12:13], v[12:13], s[10:11]
	s_mov_b32 s10, 0xd536f53c
	v_fma_f64 v[16:17], v[6:7], v[12:13], -v[16:17]
	s_mov_b32 s11, 0x3fba46da
	v_add_f64 v[16:17], v[16:17], s[10:11]
	s_mov_b32 s10, 0x469192e
	v_fma_f64 v[12:13], v[6:7], v[16:17], -v[12:13]
	s_mov_b32 s11, 0xbfc694d1
	v_add_f64 v[12:13], v[12:13], s[10:11]
	s_mov_b32 s10, 0x724a7ffa
	v_fma_f64 v[6:7], v[6:7], v[12:13], -v[16:17]
	s_mov_b32 s11, 0x3fd02a63
	v_add_f64 v[6:7], v[6:7], s[10:11]
	v_add_f64 v[6:7], v[6:7], -v[16:17]
	s_mov_b32 s10, 0x652b82fe
	v_mul_f64 v[6:7], v[6:7], 0.5
	s_mov_b32 s11, 0x3ff71547
	v_mul_f64 v[12:13], |v[8:9]|, v[6:7]
	v_mul_f64 v[6:7], |v[8:9]|, s[10:11]
	s_mov_b32 s10, 0xfefa39ef
	v_rndne_f64_e32 v[6:7], v[6:7]
	s_mov_b32 s11, 0xbfe62e42
	v_fma_f64 v[16:17], v[6:7], s[10:11], |v[8:9]|
	s_mov_b32 s10, 0x3b39803f
	s_mov_b32 s11, 0xbc7abc9e
	v_fmac_f64_e32 v[16:17], s[10:11], v[6:7]
	s_mov_b32 s10, 0x6a5dcb37
	v_mov_b32_e32 v18, 0xfca7ab0c
	v_mov_b32_e32 v19, 0x3e928af3
	s_mov_b32 s11, 0x3e5ade15
	v_fmac_f64_e32 v[18:19], s[10:11], v[16:17]
	v_mov_b32_e32 v20, 0x623fde64
	v_mov_b32_e32 v21, 0x3ec71dee
	v_fmac_f64_e32 v[20:21], v[16:17], v[18:19]
	v_mov_b32_e32 v18, 0x7c89e6b0
	v_mov_b32_e32 v19, 0x3efa0199
	;; [unrolled: 3-line block ×8, first 2 shown]
	v_fmac_f64_e32 v[18:19], v[16:17], v[20:21]
	v_fma_f64 v[18:19], v[16:17], v[18:19], 1.0
	v_cmp_ngt_f64_e32 vcc, 0, v[8:9]
	v_fma_f64 v[16:17], v[16:17], v[18:19], 1.0
	v_cvt_i32_f64_e32 v1, v[6:7]
                                        ; implicit-def: $vgpr6_vgpr7
	s_and_saveexec_b64 s[10:11], vcc
	s_xor_b64 s[10:11], exec, s[10:11]
; %bb.5:
	s_mov_b32 s12, 0
	s_mov_b32 s13, 0x40900000
	v_ldexp_f64 v[6:7], v[16:17], v1
	v_mov_b32_e32 v1, 0x7ff00000
	v_cmp_ngt_f64_e64 vcc, |v[8:9]|, s[12:13]
                                        ; implicit-def: $vgpr16_vgpr17
	s_nop 1
	v_cndmask_b32_e32 v7, v1, v7, vcc
	v_cndmask_b32_e32 v6, 0, v6, vcc
	v_mul_f64 v[6:7], v[6:7], v[12:13]
                                        ; implicit-def: $vgpr1
                                        ; implicit-def: $vgpr12_vgpr13
; %bb.6:
	s_andn2_saveexec_b64 s[10:11], s[10:11]
; %bb.7:
	s_mov_b32 s12, 0
	s_mov_b32 s13, 0x40900000
	v_ldexp_f64 v[6:7], -v[16:17], v1
	v_mov_b32_e32 v1, 0xfff00000
	v_cmp_ngt_f64_e64 vcc, |v[8:9]|, s[12:13]
	s_nop 1
	v_cndmask_b32_e32 v7, v1, v7, vcc
	v_cndmask_b32_e32 v6, 0, v6, vcc
	v_mul_f64 v[6:7], v[6:7], v[12:13]
; %bb.8:
	s_or_b64 exec, exec, s[10:11]
.LBB5_9:
	s_andn2_saveexec_b64 s[10:11], s[0:1]
	s_cbranch_execz .LBB5_15
; %bb.10:
	s_mov_b32 s0, 0
	v_and_b32_e32 v7, 0x7fffffff, v9
	v_mov_b32_e32 v6, v8
	s_mov_b32 s1, 0x40400000
	v_div_scale_f64 v[12:13], s[12:13], v[6:7], v[6:7], s[0:1]
	v_rcp_f64_e32 v[16:17], v[12:13]
	v_div_scale_f64 v[6:7], vcc, s[0:1], v[6:7], s[0:1]
	v_mov_b32_e32 v20, 0xfca7ab0c
	v_fma_f64 v[18:19], -v[12:13], v[16:17], 1.0
	v_fmac_f64_e32 v[16:17], v[16:17], v[18:19]
	v_fma_f64 v[18:19], -v[12:13], v[16:17], 1.0
	v_fmac_f64_e32 v[16:17], v[16:17], v[18:19]
	v_mul_f64 v[18:19], v[6:7], v[16:17]
	v_fma_f64 v[6:7], -v[12:13], v[18:19], v[6:7]
	v_div_fmas_f64 v[6:7], v[6:7], v[16:17], v[18:19]
	v_div_fixup_f64 v[6:7], v[6:7], |v[8:9]|, s[0:1]
	s_mov_b32 s0, 0xb352e8e6
	v_add_f64 v[6:7], v[6:7], -2.0
	v_mov_b32_e32 v12, 0xea87b950
	v_mov_b32_e32 v13, 0x3c545b8a
	s_mov_b32 s1, 0x3c61556d
	v_fmac_f64_e32 v[12:13], s[0:1], v[6:7]
	v_mov_b32_e32 v16, 0xb352e8e6
	v_mov_b32_e32 v17, 0xbc61556d
	s_mov_b32 s0, 0xb2532277
	v_fmac_f64_e32 v[16:17], v[6:7], v[12:13]
	s_mov_b32 s1, 0xbc8acea3
	v_add_f64 v[16:17], v[16:17], s[0:1]
	s_mov_b32 s0, 0x9c773320
	v_fma_f64 v[12:13], v[6:7], v[16:17], -v[12:13]
	s_mov_b32 s1, 0xbc82806c
	v_add_f64 v[12:13], v[12:13], s[0:1]
	s_mov_b32 s0, 0xfceb588a
	v_fma_f64 v[16:17], v[6:7], v[12:13], -v[16:17]
	;; [unrolled: 4-line block ×22, first 2 shown]
	s_mov_b32 s1, 0x3fe8ea18
	v_add_f64 v[6:7], v[6:7], s[0:1]
	s_mov_b32 s0, 0x652b82fe
	s_mov_b32 s1, 0x3ff71547
	v_mul_f64 v[12:13], |v[8:9]|, s[0:1]
	s_mov_b32 s0, 0xfefa39ef
	v_rndne_f64_e32 v[12:13], v[12:13]
	s_mov_b32 s1, 0xbfe62e42
	v_fma_f64 v[18:19], v[12:13], s[0:1], |v[8:9]|
	s_mov_b32 s0, 0x3b39803f
	s_mov_b32 s1, 0xbc7abc9e
	v_fmac_f64_e32 v[18:19], s[0:1], v[12:13]
	s_mov_b32 s0, 0x6a5dcb37
	v_mov_b32_e32 v21, 0x3e928af3
	s_mov_b32 s1, 0x3e5ade15
	v_fmac_f64_e32 v[20:21], s[0:1], v[18:19]
	v_mov_b32_e32 v22, 0x623fde64
	v_mov_b32_e32 v23, 0x3ec71dee
	v_fmac_f64_e32 v[22:23], v[18:19], v[20:21]
	v_mov_b32_e32 v20, 0x7c89e6b0
	v_mov_b32_e32 v21, 0x3efa0199
	;; [unrolled: 3-line block ×8, first 2 shown]
	v_fmac_f64_e32 v[20:21], v[18:19], v[22:23]
	v_fma_f64 v[20:21], v[18:19], v[20:21], 1.0
	s_mov_b32 s0, 0
	v_fma_f64 v[18:19], v[18:19], v[20:21], 1.0
	v_cvt_i32_f64_e32 v1, v[12:13]
	s_mov_b32 s1, 0x40900000
	v_ldexp_f64 v[12:13], v[18:19], v1
	v_mov_b32_e32 v1, 0x7ff00000
	v_cmp_ngt_f64_e64 s[0:1], |v[8:9]|, s[0:1]
	v_cmp_ngt_f64_e32 vcc, 0, v[8:9]
	v_add_f64 v[16:17], v[6:7], -v[16:17]
	v_cndmask_b32_e64 v13, v1, v13, s[0:1]
	v_cndmask_b32_e64 v12, 0, v12, s[0:1]
                                        ; implicit-def: $vgpr6_vgpr7
	s_and_saveexec_b64 s[0:1], vcc
	s_xor_b64 s[0:1], exec, s[0:1]
	s_cbranch_execz .LBB5_12
; %bb.11:
	s_mov_b32 s12, 0
	s_brev_b32 s13, 8
	v_mov_b32_e32 v1, 0x100
	v_cmp_lt_f64_e64 vcc, |v[8:9]|, s[12:13]
	v_mul_f64 v[16:17], v[16:17], 0.5
	v_mul_f64 v[12:13], v[12:13], v[16:17]
	v_cndmask_b32_e32 v1, 0, v1, vcc
	v_ldexp_f64 v[6:7], |v[8:9]|, v1
	v_rsq_f64_e32 v[18:19], v[6:7]
	v_mov_b32_e32 v1, 0xffffff80
	v_cndmask_b32_e32 v1, 0, v1, vcc
	v_mul_f64 v[16:17], v[6:7], v[18:19]
	v_mul_f64 v[18:19], v[18:19], 0.5
	v_fma_f64 v[20:21], -v[18:19], v[16:17], 0.5
	v_fmac_f64_e32 v[16:17], v[16:17], v[20:21]
	v_fma_f64 v[22:23], -v[16:17], v[16:17], v[6:7]
	v_fmac_f64_e32 v[18:19], v[18:19], v[20:21]
	v_fmac_f64_e32 v[16:17], v[22:23], v[18:19]
	v_fma_f64 v[20:21], -v[16:17], v[16:17], v[6:7]
	v_fmac_f64_e32 v[16:17], v[20:21], v[18:19]
	v_ldexp_f64 v[16:17], v[16:17], v1
	v_mov_b32_e32 v1, 0x260
	v_cmp_class_f64_e32 vcc, v[6:7], v1
	s_nop 1
	v_cndmask_b32_e32 v7, v17, v7, vcc
	v_cndmask_b32_e32 v6, v16, v6, vcc
	v_div_scale_f64 v[16:17], s[12:13], v[6:7], v[6:7], v[12:13]
	v_rcp_f64_e32 v[18:19], v[16:17]
	s_nop 0
	v_fma_f64 v[20:21], -v[16:17], v[18:19], 1.0
	v_fmac_f64_e32 v[18:19], v[18:19], v[20:21]
	v_fma_f64 v[20:21], -v[16:17], v[18:19], 1.0
	v_fmac_f64_e32 v[18:19], v[18:19], v[20:21]
	v_div_scale_f64 v[20:21], vcc, v[12:13], v[6:7], v[12:13]
	v_mul_f64 v[22:23], v[20:21], v[18:19]
	v_fma_f64 v[16:17], -v[16:17], v[22:23], v[20:21]
	s_nop 1
	v_div_fmas_f64 v[16:17], v[16:17], v[18:19], v[22:23]
	v_div_fixup_f64 v[6:7], v[16:17], v[6:7], v[12:13]
                                        ; implicit-def: $vgpr16_vgpr17
                                        ; implicit-def: $vgpr12_vgpr13
.LBB5_12:
	s_andn2_saveexec_b64 s[0:1], s[0:1]
	s_cbranch_execz .LBB5_14
; %bb.13:
	s_mov_b32 s12, 0
	s_brev_b32 s13, 8
	v_mov_b32_e32 v1, 0x100
	v_cmp_lt_f64_e64 vcc, |v[8:9]|, s[12:13]
	s_nop 1
	v_cndmask_b32_e32 v1, 0, v1, vcc
	v_ldexp_f64 v[6:7], |v[8:9]|, v1
	v_rsq_f64_e32 v[8:9], v[6:7]
	v_mov_b32_e32 v1, 0xffffff80
	v_cndmask_b32_e32 v1, 0, v1, vcc
	v_mul_f64 v[18:19], v[6:7], v[8:9]
	v_mul_f64 v[8:9], v[8:9], 0.5
	v_fma_f64 v[20:21], -v[8:9], v[18:19], 0.5
	v_fmac_f64_e32 v[18:19], v[18:19], v[20:21]
	v_fma_f64 v[22:23], -v[18:19], v[18:19], v[6:7]
	v_fmac_f64_e32 v[8:9], v[8:9], v[20:21]
	v_fmac_f64_e32 v[18:19], v[22:23], v[8:9]
	v_fma_f64 v[20:21], -v[18:19], v[18:19], v[6:7]
	v_fmac_f64_e32 v[18:19], v[20:21], v[8:9]
	v_ldexp_f64 v[8:9], v[18:19], v1
	v_mov_b32_e32 v1, 0x260
	v_cmp_class_f64_e32 vcc, v[6:7], v1
	s_nop 1
	v_cndmask_b32_e32 v7, v9, v7, vcc
	v_cndmask_b32_e32 v6, v8, v6, vcc
	v_mul_f64 v[8:9], v[16:17], -0.5
	v_mul_f64 v[8:9], v[12:13], v[8:9]
	v_div_scale_f64 v[12:13], s[12:13], v[6:7], v[6:7], v[8:9]
	v_rcp_f64_e32 v[16:17], v[12:13]
	s_nop 0
	v_fma_f64 v[18:19], -v[12:13], v[16:17], 1.0
	v_fmac_f64_e32 v[16:17], v[16:17], v[18:19]
	v_fma_f64 v[18:19], -v[12:13], v[16:17], 1.0
	v_fmac_f64_e32 v[16:17], v[16:17], v[18:19]
	v_div_scale_f64 v[18:19], vcc, v[8:9], v[6:7], v[8:9]
	v_mul_f64 v[20:21], v[18:19], v[16:17]
	v_fma_f64 v[12:13], -v[12:13], v[20:21], v[18:19]
	s_nop 1
	v_div_fmas_f64 v[12:13], v[12:13], v[16:17], v[20:21]
	v_div_fixup_f64 v[6:7], v[12:13], v[6:7], v[8:9]
.LBB5_14:
	s_or_b64 exec, exec, s[0:1]
.LBB5_15:
	s_or_b64 exec, exec, s[10:11]
	s_mov_b32 s0, 0
	s_mov_b32 s1, 0x40200000
	v_cmp_le_f64_e64 s[0:1], |v[10:11]|, s[0:1]
	s_and_saveexec_b64 s[10:11], s[0:1]
	s_xor_b64 s[0:1], exec, s[10:11]
	s_cbranch_execz .LBB5_21
; %bb.16:
	s_mov_b32 s10, 0xc3c4014
	v_fma_f64 v[8:9], |v[10:11]|, 0.5, -2.0
	v_mov_b32_e32 v12, 0xc38a0576
	v_mov_b32_e32 v13, 0xbc7857d0
	s_mov_b32 s11, 0x3c499f2a
	v_fmac_f64_e32 v[12:13], s[10:11], v[8:9]
	v_mov_b32_e32 v16, 0xc3c4014
	v_mov_b32_e32 v17, 0xbc499f2a
	s_mov_b32 s10, 0xe593bfac
	v_fmac_f64_e32 v[16:17], v[8:9], v[12:13]
	s_mov_b32 s11, 0x3ca663e3
	v_add_f64 v[16:17], v[16:17], s[10:11]
	s_mov_b32 s10, 0x7e0d1573
	v_fma_f64 v[12:13], v[8:9], v[16:17], -v[12:13]
	s_mov_b32 s11, 0xbcd3eaaa
	v_add_f64 v[12:13], v[12:13], s[10:11]
	s_mov_b32 s10, 0x615290c
	v_fma_f64 v[16:17], v[8:9], v[12:13], -v[16:17]
	;; [unrolled: 4-line block ×26, first 2 shown]
	s_mov_b32 s11, 0x3fd02a63
	v_add_f64 v[8:9], v[8:9], s[10:11]
	v_add_f64 v[8:9], v[8:9], -v[16:17]
	s_mov_b32 s10, 0x652b82fe
	v_mul_f64 v[8:9], v[8:9], 0.5
	s_mov_b32 s11, 0x3ff71547
	v_mul_f64 v[12:13], |v[10:11]|, v[8:9]
	v_mul_f64 v[8:9], |v[10:11]|, s[10:11]
	s_mov_b32 s10, 0xfefa39ef
	v_rndne_f64_e32 v[8:9], v[8:9]
	s_mov_b32 s11, 0xbfe62e42
	v_fma_f64 v[16:17], v[8:9], s[10:11], |v[10:11]|
	s_mov_b32 s10, 0x3b39803f
	s_mov_b32 s11, 0xbc7abc9e
	v_fmac_f64_e32 v[16:17], s[10:11], v[8:9]
	s_mov_b32 s10, 0x6a5dcb37
	v_mov_b32_e32 v18, 0xfca7ab0c
	v_mov_b32_e32 v19, 0x3e928af3
	s_mov_b32 s11, 0x3e5ade15
	v_fmac_f64_e32 v[18:19], s[10:11], v[16:17]
	v_mov_b32_e32 v20, 0x623fde64
	v_mov_b32_e32 v21, 0x3ec71dee
	v_fmac_f64_e32 v[20:21], v[16:17], v[18:19]
	v_mov_b32_e32 v18, 0x7c89e6b0
	v_mov_b32_e32 v19, 0x3efa0199
	v_fmac_f64_e32 v[18:19], v[16:17], v[20:21]
	v_mov_b32_e32 v20, 0x14761f6e
	v_mov_b32_e32 v21, 0x3f2a01a0
	v_fmac_f64_e32 v[20:21], v[16:17], v[18:19]
	v_mov_b32_e32 v18, 0x1852b7b0
	v_mov_b32_e32 v19, 0x3f56c16c
	v_fmac_f64_e32 v[18:19], v[16:17], v[20:21]
	v_mov_b32_e32 v20, 0x11122322
	v_mov_b32_e32 v21, 0x3f811111
	v_fmac_f64_e32 v[20:21], v[16:17], v[18:19]
	v_mov_b32_e32 v18, 0x555502a1
	v_mov_b32_e32 v19, 0x3fa55555
	v_fmac_f64_e32 v[18:19], v[16:17], v[20:21]
	v_mov_b32_e32 v20, 0x55555511
	v_mov_b32_e32 v21, 0x3fc55555
	v_fmac_f64_e32 v[20:21], v[16:17], v[18:19]
	v_mov_b32_e32 v18, 11
	v_mov_b32_e32 v19, 0x3fe00000
	v_fmac_f64_e32 v[18:19], v[16:17], v[20:21]
	v_fma_f64 v[18:19], v[16:17], v[18:19], 1.0
	v_cmp_ngt_f64_e32 vcc, 0, v[10:11]
	v_fma_f64 v[16:17], v[16:17], v[18:19], 1.0
	v_cvt_i32_f64_e32 v1, v[8:9]
	s_and_saveexec_b64 s[10:11], vcc
	s_xor_b64 s[10:11], exec, s[10:11]
; %bb.17:
	s_mov_b32 s12, 0
	s_mov_b32 s13, 0x40900000
	v_ldexp_f64 v[8:9], v[16:17], v1
	v_mov_b32_e32 v1, 0x7ff00000
	v_cmp_ngt_f64_e64 vcc, |v[10:11]|, s[12:13]
                                        ; implicit-def: $vgpr16_vgpr17
                                        ; implicit-def: $vgpr10_vgpr11
	s_nop 1
	v_cndmask_b32_e32 v9, v1, v9, vcc
	v_cndmask_b32_e32 v8, 0, v8, vcc
	v_mul_f64 v[8:9], v[8:9], v[12:13]
                                        ; implicit-def: $vgpr1
                                        ; implicit-def: $vgpr12_vgpr13
; %bb.18:
	s_andn2_saveexec_b64 s[10:11], s[10:11]
; %bb.19:
	s_mov_b32 s12, 0
	s_mov_b32 s13, 0x40900000
	v_ldexp_f64 v[8:9], -v[16:17], v1
	v_mov_b32_e32 v1, 0xfff00000
	v_cmp_ngt_f64_e64 vcc, |v[10:11]|, s[12:13]
	s_nop 1
	v_cndmask_b32_e32 v9, v1, v9, vcc
	v_cndmask_b32_e32 v8, 0, v8, vcc
	v_mul_f64 v[8:9], v[8:9], v[12:13]
; %bb.20:
	s_or_b64 exec, exec, s[10:11]
                                        ; implicit-def: $vgpr10_vgpr11
.LBB5_21:
	s_andn2_saveexec_b64 s[10:11], s[0:1]
	s_cbranch_execz .LBB5_27
; %bb.22:
	s_mov_b32 s0, 0
	v_and_b32_e32 v9, 0x7fffffff, v11
	v_mov_b32_e32 v8, v10
	s_mov_b32 s1, 0x40400000
	v_div_scale_f64 v[12:13], s[12:13], v[8:9], v[8:9], s[0:1]
	v_rcp_f64_e32 v[16:17], v[12:13]
	v_div_scale_f64 v[8:9], vcc, s[0:1], v[8:9], s[0:1]
	v_mov_b32_e32 v20, 0xfca7ab0c
	v_fma_f64 v[18:19], -v[12:13], v[16:17], 1.0
	v_fmac_f64_e32 v[16:17], v[16:17], v[18:19]
	v_fma_f64 v[18:19], -v[12:13], v[16:17], 1.0
	v_fmac_f64_e32 v[16:17], v[16:17], v[18:19]
	v_mul_f64 v[18:19], v[8:9], v[16:17]
	v_fma_f64 v[8:9], -v[12:13], v[18:19], v[8:9]
	v_div_fmas_f64 v[8:9], v[8:9], v[16:17], v[18:19]
	v_div_fixup_f64 v[8:9], v[8:9], |v[10:11]|, s[0:1]
	s_mov_b32 s0, 0xb352e8e6
	v_add_f64 v[8:9], v[8:9], -2.0
	v_mov_b32_e32 v12, 0xea87b950
	v_mov_b32_e32 v13, 0x3c545b8a
	s_mov_b32 s1, 0x3c61556d
	v_fmac_f64_e32 v[12:13], s[0:1], v[8:9]
	v_mov_b32_e32 v16, 0xb352e8e6
	v_mov_b32_e32 v17, 0xbc61556d
	s_mov_b32 s0, 0xb2532277
	v_fmac_f64_e32 v[16:17], v[8:9], v[12:13]
	s_mov_b32 s1, 0xbc8acea3
	v_add_f64 v[16:17], v[16:17], s[0:1]
	s_mov_b32 s0, 0x9c773320
	v_fma_f64 v[12:13], v[8:9], v[16:17], -v[12:13]
	s_mov_b32 s1, 0xbc82806c
	v_add_f64 v[12:13], v[12:13], s[0:1]
	s_mov_b32 s0, 0xfceb588a
	v_fma_f64 v[16:17], v[8:9], v[12:13], -v[16:17]
	;; [unrolled: 4-line block ×22, first 2 shown]
	s_mov_b32 s1, 0x3fe8ea18
	v_add_f64 v[8:9], v[8:9], s[0:1]
	s_mov_b32 s0, 0x652b82fe
	s_mov_b32 s1, 0x3ff71547
	v_mul_f64 v[12:13], |v[10:11]|, s[0:1]
	s_mov_b32 s0, 0xfefa39ef
	v_rndne_f64_e32 v[12:13], v[12:13]
	s_mov_b32 s1, 0xbfe62e42
	v_fma_f64 v[18:19], v[12:13], s[0:1], |v[10:11]|
	s_mov_b32 s0, 0x3b39803f
	s_mov_b32 s1, 0xbc7abc9e
	v_fmac_f64_e32 v[18:19], s[0:1], v[12:13]
	s_mov_b32 s0, 0x6a5dcb37
	v_mov_b32_e32 v21, 0x3e928af3
	s_mov_b32 s1, 0x3e5ade15
	v_fmac_f64_e32 v[20:21], s[0:1], v[18:19]
	v_mov_b32_e32 v22, 0x623fde64
	v_mov_b32_e32 v23, 0x3ec71dee
	v_fmac_f64_e32 v[22:23], v[18:19], v[20:21]
	v_mov_b32_e32 v20, 0x7c89e6b0
	v_mov_b32_e32 v21, 0x3efa0199
	;; [unrolled: 3-line block ×8, first 2 shown]
	v_fmac_f64_e32 v[20:21], v[18:19], v[22:23]
	v_fma_f64 v[20:21], v[18:19], v[20:21], 1.0
	s_mov_b32 s0, 0
	v_fma_f64 v[18:19], v[18:19], v[20:21], 1.0
	v_cvt_i32_f64_e32 v1, v[12:13]
	s_mov_b32 s1, 0x40900000
	v_ldexp_f64 v[12:13], v[18:19], v1
	v_mov_b32_e32 v1, 0x7ff00000
	v_cmp_ngt_f64_e64 s[0:1], |v[10:11]|, s[0:1]
	v_cmp_ngt_f64_e32 vcc, 0, v[10:11]
	v_add_f64 v[16:17], v[8:9], -v[16:17]
	v_cndmask_b32_e64 v13, v1, v13, s[0:1]
	v_cndmask_b32_e64 v12, 0, v12, s[0:1]
	s_and_saveexec_b64 s[0:1], vcc
	s_xor_b64 s[0:1], exec, s[0:1]
	s_cbranch_execz .LBB5_24
; %bb.23:
	s_mov_b32 s12, 0
	s_brev_b32 s13, 8
	v_mov_b32_e32 v1, 0x100
	v_cmp_lt_f64_e64 vcc, |v[10:11]|, s[12:13]
	v_mul_f64 v[16:17], v[16:17], 0.5
	v_mul_f64 v[12:13], v[12:13], v[16:17]
	v_cndmask_b32_e32 v1, 0, v1, vcc
	v_ldexp_f64 v[8:9], |v[10:11]|, v1
	v_rsq_f64_e32 v[10:11], v[8:9]
	v_mov_b32_e32 v1, 0xffffff80
	v_cndmask_b32_e32 v1, 0, v1, vcc
	v_mul_f64 v[16:17], v[8:9], v[10:11]
	v_mul_f64 v[10:11], v[10:11], 0.5
	v_fma_f64 v[18:19], -v[10:11], v[16:17], 0.5
	v_fmac_f64_e32 v[16:17], v[16:17], v[18:19]
	v_fma_f64 v[20:21], -v[16:17], v[16:17], v[8:9]
	v_fmac_f64_e32 v[10:11], v[10:11], v[18:19]
	v_fmac_f64_e32 v[16:17], v[20:21], v[10:11]
	v_fma_f64 v[18:19], -v[16:17], v[16:17], v[8:9]
	v_fmac_f64_e32 v[16:17], v[18:19], v[10:11]
	v_ldexp_f64 v[10:11], v[16:17], v1
	v_mov_b32_e32 v1, 0x260
	v_cmp_class_f64_e32 vcc, v[8:9], v1
	s_nop 1
	v_cndmask_b32_e32 v9, v11, v9, vcc
	v_cndmask_b32_e32 v8, v10, v8, vcc
	v_div_scale_f64 v[10:11], s[12:13], v[8:9], v[8:9], v[12:13]
	v_rcp_f64_e32 v[16:17], v[10:11]
	s_nop 0
	v_fma_f64 v[18:19], -v[10:11], v[16:17], 1.0
	v_fmac_f64_e32 v[16:17], v[16:17], v[18:19]
	v_fma_f64 v[18:19], -v[10:11], v[16:17], 1.0
	v_fmac_f64_e32 v[16:17], v[16:17], v[18:19]
	v_div_scale_f64 v[18:19], vcc, v[12:13], v[8:9], v[12:13]
	v_mul_f64 v[20:21], v[18:19], v[16:17]
	v_fma_f64 v[10:11], -v[10:11], v[20:21], v[18:19]
	s_nop 1
	v_div_fmas_f64 v[10:11], v[10:11], v[16:17], v[20:21]
	v_div_fixup_f64 v[8:9], v[10:11], v[8:9], v[12:13]
                                        ; implicit-def: $vgpr10_vgpr11
                                        ; implicit-def: $vgpr16_vgpr17
                                        ; implicit-def: $vgpr12_vgpr13
.LBB5_24:
	s_andn2_saveexec_b64 s[0:1], s[0:1]
	s_cbranch_execz .LBB5_26
; %bb.25:
	s_mov_b32 s12, 0
	s_brev_b32 s13, 8
	v_mov_b32_e32 v1, 0x100
	v_cmp_lt_f64_e64 vcc, |v[10:11]|, s[12:13]
	s_nop 1
	v_cndmask_b32_e32 v1, 0, v1, vcc
	v_ldexp_f64 v[8:9], |v[10:11]|, v1
	v_rsq_f64_e32 v[10:11], v[8:9]
	v_mov_b32_e32 v1, 0xffffff80
	v_cndmask_b32_e32 v1, 0, v1, vcc
	v_mul_f64 v[18:19], v[8:9], v[10:11]
	v_mul_f64 v[10:11], v[10:11], 0.5
	v_fma_f64 v[20:21], -v[10:11], v[18:19], 0.5
	v_fmac_f64_e32 v[18:19], v[18:19], v[20:21]
	v_fma_f64 v[22:23], -v[18:19], v[18:19], v[8:9]
	v_fmac_f64_e32 v[10:11], v[10:11], v[20:21]
	v_fmac_f64_e32 v[18:19], v[22:23], v[10:11]
	v_fma_f64 v[20:21], -v[18:19], v[18:19], v[8:9]
	v_fmac_f64_e32 v[18:19], v[20:21], v[10:11]
	v_ldexp_f64 v[10:11], v[18:19], v1
	v_mov_b32_e32 v1, 0x260
	v_cmp_class_f64_e32 vcc, v[8:9], v1
	s_nop 1
	v_cndmask_b32_e32 v9, v11, v9, vcc
	v_cndmask_b32_e32 v8, v10, v8, vcc
	v_mul_f64 v[10:11], v[16:17], -0.5
	v_mul_f64 v[10:11], v[12:13], v[10:11]
	v_div_scale_f64 v[12:13], s[12:13], v[8:9], v[8:9], v[10:11]
	v_rcp_f64_e32 v[16:17], v[12:13]
	s_nop 0
	v_fma_f64 v[18:19], -v[12:13], v[16:17], 1.0
	v_fmac_f64_e32 v[16:17], v[16:17], v[18:19]
	v_fma_f64 v[18:19], -v[12:13], v[16:17], 1.0
	v_fmac_f64_e32 v[16:17], v[16:17], v[18:19]
	v_div_scale_f64 v[18:19], vcc, v[10:11], v[8:9], v[10:11]
	v_mul_f64 v[20:21], v[18:19], v[16:17]
	v_fma_f64 v[12:13], -v[12:13], v[20:21], v[18:19]
	s_nop 1
	v_div_fmas_f64 v[12:13], v[12:13], v[16:17], v[20:21]
	v_div_fixup_f64 v[8:9], v[12:13], v[8:9], v[10:11]
.LBB5_26:
	s_or_b64 exec, exec, s[0:1]
.LBB5_27:
	s_or_b64 exec, exec, s[10:11]
	s_mov_b32 s0, 0
	s_mov_b32 s1, 0x40200000
	s_waitcnt vmcnt(0)
	v_cmp_le_f64_e64 s[0:1], |v[2:3]|, s[0:1]
                                        ; implicit-def: $vgpr10_vgpr11
	s_and_saveexec_b64 s[10:11], s[0:1]
	s_xor_b64 s[0:1], exec, s[10:11]
	s_cbranch_execz .LBB5_33
; %bb.28:
	s_mov_b32 s10, 0xc3c4014
	v_fma_f64 v[10:11], |v[2:3]|, 0.5, -2.0
	v_mov_b32_e32 v12, 0xc38a0576
	v_mov_b32_e32 v13, 0xbc7857d0
	s_mov_b32 s11, 0x3c499f2a
	v_fmac_f64_e32 v[12:13], s[10:11], v[10:11]
	v_mov_b32_e32 v16, 0xc3c4014
	v_mov_b32_e32 v17, 0xbc499f2a
	s_mov_b32 s10, 0xe593bfac
	v_fmac_f64_e32 v[16:17], v[10:11], v[12:13]
	s_mov_b32 s11, 0x3ca663e3
	v_add_f64 v[16:17], v[16:17], s[10:11]
	s_mov_b32 s10, 0x7e0d1573
	v_fma_f64 v[12:13], v[10:11], v[16:17], -v[12:13]
	s_mov_b32 s11, 0xbcd3eaaa
	v_add_f64 v[12:13], v[12:13], s[10:11]
	s_mov_b32 s10, 0x615290c
	v_fma_f64 v[16:17], v[10:11], v[12:13], -v[16:17]
	;; [unrolled: 4-line block ×26, first 2 shown]
	s_mov_b32 s11, 0x3fd02a63
	v_add_f64 v[10:11], v[10:11], s[10:11]
	v_add_f64 v[10:11], v[10:11], -v[16:17]
	s_mov_b32 s10, 0x652b82fe
	v_mul_f64 v[10:11], v[10:11], 0.5
	s_mov_b32 s11, 0x3ff71547
	v_mul_f64 v[12:13], |v[2:3]|, v[10:11]
	v_mul_f64 v[10:11], |v[2:3]|, s[10:11]
	s_mov_b32 s10, 0xfefa39ef
	v_rndne_f64_e32 v[10:11], v[10:11]
	s_mov_b32 s11, 0xbfe62e42
	v_fma_f64 v[16:17], v[10:11], s[10:11], |v[2:3]|
	s_mov_b32 s10, 0x3b39803f
	s_mov_b32 s11, 0xbc7abc9e
	v_fmac_f64_e32 v[16:17], s[10:11], v[10:11]
	s_mov_b32 s10, 0x6a5dcb37
	v_mov_b32_e32 v18, 0xfca7ab0c
	v_mov_b32_e32 v19, 0x3e928af3
	s_mov_b32 s11, 0x3e5ade15
	v_fmac_f64_e32 v[18:19], s[10:11], v[16:17]
	v_mov_b32_e32 v20, 0x623fde64
	v_mov_b32_e32 v21, 0x3ec71dee
	v_fmac_f64_e32 v[20:21], v[16:17], v[18:19]
	v_mov_b32_e32 v18, 0x7c89e6b0
	v_mov_b32_e32 v19, 0x3efa0199
	v_fmac_f64_e32 v[18:19], v[16:17], v[20:21]
	v_mov_b32_e32 v20, 0x14761f6e
	v_mov_b32_e32 v21, 0x3f2a01a0
	v_fmac_f64_e32 v[20:21], v[16:17], v[18:19]
	v_mov_b32_e32 v18, 0x1852b7b0
	v_mov_b32_e32 v19, 0x3f56c16c
	v_fmac_f64_e32 v[18:19], v[16:17], v[20:21]
	v_mov_b32_e32 v20, 0x11122322
	v_mov_b32_e32 v21, 0x3f811111
	v_fmac_f64_e32 v[20:21], v[16:17], v[18:19]
	v_mov_b32_e32 v18, 0x555502a1
	v_mov_b32_e32 v19, 0x3fa55555
	v_fmac_f64_e32 v[18:19], v[16:17], v[20:21]
	v_mov_b32_e32 v20, 0x55555511
	v_mov_b32_e32 v21, 0x3fc55555
	v_fmac_f64_e32 v[20:21], v[16:17], v[18:19]
	v_mov_b32_e32 v18, 11
	v_mov_b32_e32 v19, 0x3fe00000
	v_fmac_f64_e32 v[18:19], v[16:17], v[20:21]
	v_fma_f64 v[18:19], v[16:17], v[18:19], 1.0
	v_cmp_ngt_f64_e32 vcc, 0, v[2:3]
	v_fma_f64 v[16:17], v[16:17], v[18:19], 1.0
	v_cvt_i32_f64_e32 v1, v[10:11]
                                        ; implicit-def: $vgpr10_vgpr11
	s_and_saveexec_b64 s[10:11], vcc
	s_xor_b64 s[10:11], exec, s[10:11]
; %bb.29:
	s_mov_b32 s12, 0
	s_mov_b32 s13, 0x40900000
	v_ldexp_f64 v[10:11], v[16:17], v1
	v_mov_b32_e32 v1, 0x7ff00000
	v_cmp_ngt_f64_e64 vcc, |v[2:3]|, s[12:13]
                                        ; implicit-def: $vgpr16_vgpr17
	s_nop 1
	v_cndmask_b32_e32 v11, v1, v11, vcc
	v_cndmask_b32_e32 v10, 0, v10, vcc
	v_mul_f64 v[10:11], v[10:11], v[12:13]
                                        ; implicit-def: $vgpr1
                                        ; implicit-def: $vgpr12_vgpr13
; %bb.30:
	s_andn2_saveexec_b64 s[10:11], s[10:11]
; %bb.31:
	s_mov_b32 s12, 0
	s_mov_b32 s13, 0x40900000
	v_ldexp_f64 v[10:11], -v[16:17], v1
	v_mov_b32_e32 v1, 0xfff00000
	v_cmp_ngt_f64_e64 vcc, |v[2:3]|, s[12:13]
	s_nop 1
	v_cndmask_b32_e32 v11, v1, v11, vcc
	v_cndmask_b32_e32 v10, 0, v10, vcc
	v_mul_f64 v[10:11], v[10:11], v[12:13]
; %bb.32:
	s_or_b64 exec, exec, s[10:11]
.LBB5_33:
	s_andn2_saveexec_b64 s[10:11], s[0:1]
	s_cbranch_execz .LBB5_39
; %bb.34:
	s_mov_b32 s0, 0
	v_and_b32_e32 v11, 0x7fffffff, v3
	v_mov_b32_e32 v10, v2
	s_mov_b32 s1, 0x40400000
	v_div_scale_f64 v[12:13], s[12:13], v[10:11], v[10:11], s[0:1]
	v_rcp_f64_e32 v[16:17], v[12:13]
	v_div_scale_f64 v[10:11], vcc, s[0:1], v[10:11], s[0:1]
	v_mov_b32_e32 v20, 0xfca7ab0c
	v_fma_f64 v[18:19], -v[12:13], v[16:17], 1.0
	v_fmac_f64_e32 v[16:17], v[16:17], v[18:19]
	v_fma_f64 v[18:19], -v[12:13], v[16:17], 1.0
	v_fmac_f64_e32 v[16:17], v[16:17], v[18:19]
	v_mul_f64 v[18:19], v[10:11], v[16:17]
	v_fma_f64 v[10:11], -v[12:13], v[18:19], v[10:11]
	v_div_fmas_f64 v[10:11], v[10:11], v[16:17], v[18:19]
	v_div_fixup_f64 v[10:11], v[10:11], |v[2:3]|, s[0:1]
	s_mov_b32 s0, 0xb352e8e6
	v_add_f64 v[10:11], v[10:11], -2.0
	v_mov_b32_e32 v12, 0xea87b950
	v_mov_b32_e32 v13, 0x3c545b8a
	s_mov_b32 s1, 0x3c61556d
	v_fmac_f64_e32 v[12:13], s[0:1], v[10:11]
	v_mov_b32_e32 v16, 0xb352e8e6
	v_mov_b32_e32 v17, 0xbc61556d
	s_mov_b32 s0, 0xb2532277
	v_fmac_f64_e32 v[16:17], v[10:11], v[12:13]
	s_mov_b32 s1, 0xbc8acea3
	v_add_f64 v[16:17], v[16:17], s[0:1]
	s_mov_b32 s0, 0x9c773320
	v_fma_f64 v[12:13], v[10:11], v[16:17], -v[12:13]
	s_mov_b32 s1, 0xbc82806c
	v_add_f64 v[12:13], v[12:13], s[0:1]
	s_mov_b32 s0, 0xfceb588a
	v_fma_f64 v[16:17], v[10:11], v[12:13], -v[16:17]
	;; [unrolled: 4-line block ×22, first 2 shown]
	s_mov_b32 s1, 0x3fe8ea18
	v_add_f64 v[10:11], v[10:11], s[0:1]
	s_mov_b32 s0, 0x652b82fe
	s_mov_b32 s1, 0x3ff71547
	v_mul_f64 v[12:13], |v[2:3]|, s[0:1]
	s_mov_b32 s0, 0xfefa39ef
	v_rndne_f64_e32 v[12:13], v[12:13]
	s_mov_b32 s1, 0xbfe62e42
	v_fma_f64 v[18:19], v[12:13], s[0:1], |v[2:3]|
	s_mov_b32 s0, 0x3b39803f
	s_mov_b32 s1, 0xbc7abc9e
	v_fmac_f64_e32 v[18:19], s[0:1], v[12:13]
	s_mov_b32 s0, 0x6a5dcb37
	v_mov_b32_e32 v21, 0x3e928af3
	s_mov_b32 s1, 0x3e5ade15
	v_fmac_f64_e32 v[20:21], s[0:1], v[18:19]
	v_mov_b32_e32 v22, 0x623fde64
	v_mov_b32_e32 v23, 0x3ec71dee
	v_fmac_f64_e32 v[22:23], v[18:19], v[20:21]
	v_mov_b32_e32 v20, 0x7c89e6b0
	v_mov_b32_e32 v21, 0x3efa0199
	;; [unrolled: 3-line block ×8, first 2 shown]
	v_fmac_f64_e32 v[20:21], v[18:19], v[22:23]
	v_fma_f64 v[20:21], v[18:19], v[20:21], 1.0
	s_mov_b32 s0, 0
	v_fma_f64 v[18:19], v[18:19], v[20:21], 1.0
	v_cvt_i32_f64_e32 v1, v[12:13]
	s_mov_b32 s1, 0x40900000
	v_ldexp_f64 v[12:13], v[18:19], v1
	v_mov_b32_e32 v1, 0x7ff00000
	v_cmp_ngt_f64_e64 s[0:1], |v[2:3]|, s[0:1]
	v_cmp_ngt_f64_e32 vcc, 0, v[2:3]
	v_add_f64 v[16:17], v[10:11], -v[16:17]
	v_cndmask_b32_e64 v13, v1, v13, s[0:1]
	v_cndmask_b32_e64 v12, 0, v12, s[0:1]
                                        ; implicit-def: $vgpr10_vgpr11
	s_and_saveexec_b64 s[0:1], vcc
	s_xor_b64 s[0:1], exec, s[0:1]
	s_cbranch_execz .LBB5_36
; %bb.35:
	s_mov_b32 s12, 0
	s_brev_b32 s13, 8
	v_mov_b32_e32 v1, 0x100
	v_cmp_lt_f64_e64 vcc, |v[2:3]|, s[12:13]
	v_mul_f64 v[16:17], v[16:17], 0.5
	v_mul_f64 v[12:13], v[12:13], v[16:17]
	v_cndmask_b32_e32 v1, 0, v1, vcc
	v_ldexp_f64 v[10:11], |v[2:3]|, v1
	v_rsq_f64_e32 v[18:19], v[10:11]
	v_mov_b32_e32 v1, 0xffffff80
	v_cndmask_b32_e32 v1, 0, v1, vcc
	v_mul_f64 v[16:17], v[10:11], v[18:19]
	v_mul_f64 v[18:19], v[18:19], 0.5
	v_fma_f64 v[20:21], -v[18:19], v[16:17], 0.5
	v_fmac_f64_e32 v[16:17], v[16:17], v[20:21]
	v_fma_f64 v[22:23], -v[16:17], v[16:17], v[10:11]
	v_fmac_f64_e32 v[18:19], v[18:19], v[20:21]
	v_fmac_f64_e32 v[16:17], v[22:23], v[18:19]
	v_fma_f64 v[20:21], -v[16:17], v[16:17], v[10:11]
	v_fmac_f64_e32 v[16:17], v[20:21], v[18:19]
	v_ldexp_f64 v[16:17], v[16:17], v1
	v_mov_b32_e32 v1, 0x260
	v_cmp_class_f64_e32 vcc, v[10:11], v1
	s_nop 1
	v_cndmask_b32_e32 v11, v17, v11, vcc
	v_cndmask_b32_e32 v10, v16, v10, vcc
	v_div_scale_f64 v[16:17], s[12:13], v[10:11], v[10:11], v[12:13]
	v_rcp_f64_e32 v[18:19], v[16:17]
	s_nop 0
	v_fma_f64 v[20:21], -v[16:17], v[18:19], 1.0
	v_fmac_f64_e32 v[18:19], v[18:19], v[20:21]
	v_fma_f64 v[20:21], -v[16:17], v[18:19], 1.0
	v_fmac_f64_e32 v[18:19], v[18:19], v[20:21]
	v_div_scale_f64 v[20:21], vcc, v[12:13], v[10:11], v[12:13]
	v_mul_f64 v[22:23], v[20:21], v[18:19]
	v_fma_f64 v[16:17], -v[16:17], v[22:23], v[20:21]
	s_nop 1
	v_div_fmas_f64 v[16:17], v[16:17], v[18:19], v[22:23]
	v_div_fixup_f64 v[10:11], v[16:17], v[10:11], v[12:13]
                                        ; implicit-def: $vgpr16_vgpr17
                                        ; implicit-def: $vgpr12_vgpr13
.LBB5_36:
	s_andn2_saveexec_b64 s[0:1], s[0:1]
	s_cbranch_execz .LBB5_38
; %bb.37:
	s_mov_b32 s12, 0
	s_brev_b32 s13, 8
	v_mov_b32_e32 v1, 0x100
	v_cmp_lt_f64_e64 vcc, |v[2:3]|, s[12:13]
	s_nop 1
	v_cndmask_b32_e32 v1, 0, v1, vcc
	v_ldexp_f64 v[2:3], |v[2:3]|, v1
	v_rsq_f64_e32 v[10:11], v[2:3]
	v_mov_b32_e32 v1, 0xffffff80
	v_cndmask_b32_e32 v1, 0, v1, vcc
	v_mul_f64 v[18:19], v[2:3], v[10:11]
	v_mul_f64 v[10:11], v[10:11], 0.5
	v_fma_f64 v[20:21], -v[10:11], v[18:19], 0.5
	v_fmac_f64_e32 v[18:19], v[18:19], v[20:21]
	v_fma_f64 v[22:23], -v[18:19], v[18:19], v[2:3]
	v_fmac_f64_e32 v[10:11], v[10:11], v[20:21]
	v_fmac_f64_e32 v[18:19], v[22:23], v[10:11]
	v_fma_f64 v[20:21], -v[18:19], v[18:19], v[2:3]
	v_fmac_f64_e32 v[18:19], v[20:21], v[10:11]
	v_ldexp_f64 v[10:11], v[18:19], v1
	v_mov_b32_e32 v1, 0x260
	v_cmp_class_f64_e32 vcc, v[2:3], v1
	s_nop 1
	v_cndmask_b32_e32 v3, v11, v3, vcc
	v_cndmask_b32_e32 v2, v10, v2, vcc
	v_mul_f64 v[10:11], v[16:17], -0.5
	v_mul_f64 v[10:11], v[12:13], v[10:11]
	v_div_scale_f64 v[12:13], s[12:13], v[2:3], v[2:3], v[10:11]
	v_rcp_f64_e32 v[16:17], v[12:13]
	s_nop 0
	v_fma_f64 v[18:19], -v[12:13], v[16:17], 1.0
	v_fmac_f64_e32 v[16:17], v[16:17], v[18:19]
	v_fma_f64 v[18:19], -v[12:13], v[16:17], 1.0
	v_fmac_f64_e32 v[16:17], v[16:17], v[18:19]
	v_div_scale_f64 v[18:19], vcc, v[10:11], v[2:3], v[10:11]
	v_mul_f64 v[20:21], v[18:19], v[16:17]
	v_fma_f64 v[12:13], -v[12:13], v[20:21], v[18:19]
	s_nop 1
	v_div_fmas_f64 v[12:13], v[12:13], v[16:17], v[20:21]
	v_div_fixup_f64 v[10:11], v[12:13], v[2:3], v[10:11]
.LBB5_38:
	s_or_b64 exec, exec, s[0:1]
.LBB5_39:
	s_or_b64 exec, exec, s[10:11]
	s_mov_b32 s0, 0
	s_mov_b32 s1, 0x40200000
	v_cmp_le_f64_e64 s[0:1], |v[4:5]|, s[0:1]
	s_and_saveexec_b64 s[10:11], s[0:1]
	s_xor_b64 s[0:1], exec, s[10:11]
	s_cbranch_execz .LBB5_45
; %bb.40:
	s_mov_b32 s10, 0xc3c4014
	v_fma_f64 v[2:3], |v[4:5]|, 0.5, -2.0
	v_mov_b32_e32 v12, 0xc38a0576
	v_mov_b32_e32 v13, 0xbc7857d0
	s_mov_b32 s11, 0x3c499f2a
	v_fmac_f64_e32 v[12:13], s[10:11], v[2:3]
	v_mov_b32_e32 v16, 0xc3c4014
	v_mov_b32_e32 v17, 0xbc499f2a
	s_mov_b32 s10, 0xe593bfac
	v_fmac_f64_e32 v[16:17], v[2:3], v[12:13]
	s_mov_b32 s11, 0x3ca663e3
	v_add_f64 v[16:17], v[16:17], s[10:11]
	s_mov_b32 s10, 0x7e0d1573
	v_fma_f64 v[12:13], v[2:3], v[16:17], -v[12:13]
	s_mov_b32 s11, 0xbcd3eaaa
	v_add_f64 v[12:13], v[12:13], s[10:11]
	s_mov_b32 s10, 0x615290c
	v_fma_f64 v[16:17], v[2:3], v[12:13], -v[16:17]
	;; [unrolled: 4-line block ×26, first 2 shown]
	s_mov_b32 s11, 0x3fd02a63
	v_add_f64 v[2:3], v[2:3], s[10:11]
	s_mov_b32 s10, 0x652b82fe
	s_mov_b32 s11, 0x3ff71547
	v_mul_f64 v[12:13], |v[4:5]|, s[10:11]
	s_mov_b32 s10, 0xfefa39ef
	v_rndne_f64_e32 v[12:13], v[12:13]
	s_mov_b32 s11, 0xbfe62e42
	v_add_f64 v[2:3], v[2:3], -v[16:17]
	v_fma_f64 v[16:17], v[12:13], s[10:11], |v[4:5]|
	s_mov_b32 s10, 0x3b39803f
	s_mov_b32 s11, 0xbc7abc9e
	v_fmac_f64_e32 v[16:17], s[10:11], v[12:13]
	s_mov_b32 s10, 0x6a5dcb37
	v_mov_b32_e32 v18, 0xfca7ab0c
	v_mov_b32_e32 v19, 0x3e928af3
	s_mov_b32 s11, 0x3e5ade15
	v_fmac_f64_e32 v[18:19], s[10:11], v[16:17]
	v_mov_b32_e32 v20, 0x623fde64
	v_mov_b32_e32 v21, 0x3ec71dee
	v_fmac_f64_e32 v[20:21], v[16:17], v[18:19]
	v_mov_b32_e32 v18, 0x7c89e6b0
	v_mov_b32_e32 v19, 0x3efa0199
	;; [unrolled: 3-line block ×8, first 2 shown]
	v_fmac_f64_e32 v[18:19], v[16:17], v[20:21]
	v_mul_f64 v[2:3], v[2:3], 0.5
	v_fma_f64 v[18:19], v[16:17], v[18:19], 1.0
	v_cmp_ngt_f64_e32 vcc, 0, v[4:5]
	v_mul_f64 v[2:3], |v[4:5]|, v[2:3]
	v_fma_f64 v[16:17], v[16:17], v[18:19], 1.0
	v_cvt_i32_f64_e32 v1, v[12:13]
	s_and_saveexec_b64 s[10:11], vcc
	s_xor_b64 s[10:11], exec, s[10:11]
; %bb.41:
	s_mov_b32 s12, 0
	s_mov_b32 s13, 0x40900000
	v_ldexp_f64 v[12:13], v[16:17], v1
	v_mov_b32_e32 v1, 0x7ff00000
	v_cmp_ngt_f64_e64 vcc, |v[4:5]|, s[12:13]
                                        ; implicit-def: $vgpr16_vgpr17
	s_nop 1
	v_cndmask_b32_e32 v5, v1, v13, vcc
	v_cndmask_b32_e32 v4, 0, v12, vcc
	v_mul_f64 v[12:13], v[4:5], v[2:3]
                                        ; implicit-def: $vgpr1
                                        ; implicit-def: $vgpr4_vgpr5
                                        ; implicit-def: $vgpr2_vgpr3
; %bb.42:
	s_andn2_saveexec_b64 s[10:11], s[10:11]
; %bb.43:
	s_mov_b32 s12, 0
	s_mov_b32 s13, 0x40900000
	v_ldexp_f64 v[12:13], -v[16:17], v1
	v_mov_b32_e32 v1, 0xfff00000
	v_cmp_ngt_f64_e64 vcc, |v[4:5]|, s[12:13]
	s_nop 1
	v_cndmask_b32_e32 v5, v1, v13, vcc
	v_cndmask_b32_e32 v4, 0, v12, vcc
	v_mul_f64 v[12:13], v[4:5], v[2:3]
; %bb.44:
	s_or_b64 exec, exec, s[10:11]
                                        ; implicit-def: $vgpr4_vgpr5
.LBB5_45:
	s_andn2_saveexec_b64 s[10:11], s[0:1]
	s_cbranch_execz .LBB5_51
; %bb.46:
	s_mov_b32 s0, 0
	v_and_b32_e32 v3, 0x7fffffff, v5
	v_mov_b32_e32 v2, v4
	s_mov_b32 s1, 0x40400000
	v_div_scale_f64 v[12:13], s[12:13], v[2:3], v[2:3], s[0:1]
	v_rcp_f64_e32 v[16:17], v[12:13]
	v_div_scale_f64 v[2:3], vcc, s[0:1], v[2:3], s[0:1]
	v_mov_b32_e32 v20, 0xfca7ab0c
	v_fma_f64 v[18:19], -v[12:13], v[16:17], 1.0
	v_fmac_f64_e32 v[16:17], v[16:17], v[18:19]
	v_fma_f64 v[18:19], -v[12:13], v[16:17], 1.0
	v_fmac_f64_e32 v[16:17], v[16:17], v[18:19]
	v_mul_f64 v[18:19], v[2:3], v[16:17]
	v_fma_f64 v[2:3], -v[12:13], v[18:19], v[2:3]
	v_div_fmas_f64 v[2:3], v[2:3], v[16:17], v[18:19]
	v_div_fixup_f64 v[2:3], v[2:3], |v[4:5]|, s[0:1]
	s_mov_b32 s0, 0xb352e8e6
	v_add_f64 v[2:3], v[2:3], -2.0
	v_mov_b32_e32 v12, 0xea87b950
	v_mov_b32_e32 v13, 0x3c545b8a
	s_mov_b32 s1, 0x3c61556d
	v_fmac_f64_e32 v[12:13], s[0:1], v[2:3]
	v_mov_b32_e32 v16, 0xb352e8e6
	v_mov_b32_e32 v17, 0xbc61556d
	s_mov_b32 s0, 0xb2532277
	v_fmac_f64_e32 v[16:17], v[2:3], v[12:13]
	s_mov_b32 s1, 0xbc8acea3
	v_add_f64 v[16:17], v[16:17], s[0:1]
	s_mov_b32 s0, 0x9c773320
	v_fma_f64 v[12:13], v[2:3], v[16:17], -v[12:13]
	s_mov_b32 s1, 0xbc82806c
	v_add_f64 v[12:13], v[12:13], s[0:1]
	s_mov_b32 s0, 0xfceb588a
	v_fma_f64 v[16:17], v[2:3], v[12:13], -v[16:17]
	;; [unrolled: 4-line block ×22, first 2 shown]
	s_mov_b32 s1, 0x3fe8ea18
	v_add_f64 v[12:13], v[2:3], s[0:1]
	s_mov_b32 s0, 0x652b82fe
	s_mov_b32 s1, 0x3ff71547
	v_mul_f64 v[2:3], |v[4:5]|, s[0:1]
	s_mov_b32 s0, 0xfefa39ef
	v_rndne_f64_e32 v[2:3], v[2:3]
	s_mov_b32 s1, 0xbfe62e42
	v_fma_f64 v[18:19], v[2:3], s[0:1], |v[4:5]|
	s_mov_b32 s0, 0x3b39803f
	s_mov_b32 s1, 0xbc7abc9e
	v_fmac_f64_e32 v[18:19], s[0:1], v[2:3]
	s_mov_b32 s0, 0x6a5dcb37
	v_mov_b32_e32 v21, 0x3e928af3
	s_mov_b32 s1, 0x3e5ade15
	v_fmac_f64_e32 v[20:21], s[0:1], v[18:19]
	v_mov_b32_e32 v22, 0x623fde64
	v_mov_b32_e32 v23, 0x3ec71dee
	v_fmac_f64_e32 v[22:23], v[18:19], v[20:21]
	v_mov_b32_e32 v20, 0x7c89e6b0
	v_mov_b32_e32 v21, 0x3efa0199
	;; [unrolled: 3-line block ×8, first 2 shown]
	v_fmac_f64_e32 v[20:21], v[18:19], v[22:23]
	v_fma_f64 v[20:21], v[18:19], v[20:21], 1.0
	s_mov_b32 s0, 0
	v_fma_f64 v[18:19], v[18:19], v[20:21], 1.0
	v_cvt_i32_f64_e32 v1, v[2:3]
	s_mov_b32 s1, 0x40900000
	v_ldexp_f64 v[2:3], v[18:19], v1
	v_mov_b32_e32 v1, 0x7ff00000
	v_cmp_ngt_f64_e64 s[0:1], |v[4:5]|, s[0:1]
	v_cmp_ngt_f64_e32 vcc, 0, v[4:5]
	v_add_f64 v[16:17], v[12:13], -v[16:17]
	v_cndmask_b32_e64 v3, v1, v3, s[0:1]
	v_cndmask_b32_e64 v2, 0, v2, s[0:1]
	s_and_saveexec_b64 s[0:1], vcc
	s_xor_b64 s[0:1], exec, s[0:1]
	s_cbranch_execz .LBB5_48
; %bb.47:
	s_mov_b32 s12, 0
	s_brev_b32 s13, 8
	v_mov_b32_e32 v1, 0x100
	v_cmp_lt_f64_e64 vcc, |v[4:5]|, s[12:13]
	v_mul_f64 v[16:17], v[16:17], 0.5
	v_mul_f64 v[2:3], v[2:3], v[16:17]
	v_cndmask_b32_e32 v1, 0, v1, vcc
	v_ldexp_f64 v[4:5], |v[4:5]|, v1
	v_rsq_f64_e32 v[12:13], v[4:5]
	v_mov_b32_e32 v1, 0xffffff80
	v_cndmask_b32_e32 v1, 0, v1, vcc
	v_mul_f64 v[16:17], v[4:5], v[12:13]
	v_mul_f64 v[12:13], v[12:13], 0.5
	v_fma_f64 v[18:19], -v[12:13], v[16:17], 0.5
	v_fmac_f64_e32 v[16:17], v[16:17], v[18:19]
	v_fma_f64 v[20:21], -v[16:17], v[16:17], v[4:5]
	v_fmac_f64_e32 v[12:13], v[12:13], v[18:19]
	v_fmac_f64_e32 v[16:17], v[20:21], v[12:13]
	v_fma_f64 v[18:19], -v[16:17], v[16:17], v[4:5]
	v_fmac_f64_e32 v[16:17], v[18:19], v[12:13]
	v_ldexp_f64 v[12:13], v[16:17], v1
	v_mov_b32_e32 v1, 0x260
	v_cmp_class_f64_e32 vcc, v[4:5], v1
	s_nop 1
	v_cndmask_b32_e32 v5, v13, v5, vcc
	v_cndmask_b32_e32 v4, v12, v4, vcc
	v_div_scale_f64 v[12:13], s[12:13], v[4:5], v[4:5], v[2:3]
	v_rcp_f64_e32 v[16:17], v[12:13]
	s_nop 0
	v_fma_f64 v[18:19], -v[12:13], v[16:17], 1.0
	v_fmac_f64_e32 v[16:17], v[16:17], v[18:19]
	v_fma_f64 v[18:19], -v[12:13], v[16:17], 1.0
	v_fmac_f64_e32 v[16:17], v[16:17], v[18:19]
	v_div_scale_f64 v[18:19], vcc, v[2:3], v[4:5], v[2:3]
	v_mul_f64 v[20:21], v[18:19], v[16:17]
	v_fma_f64 v[12:13], -v[12:13], v[20:21], v[18:19]
	s_nop 1
	v_div_fmas_f64 v[12:13], v[12:13], v[16:17], v[20:21]
	v_div_fixup_f64 v[12:13], v[12:13], v[4:5], v[2:3]
                                        ; implicit-def: $vgpr4_vgpr5
                                        ; implicit-def: $vgpr16_vgpr17
                                        ; implicit-def: $vgpr2_vgpr3
.LBB5_48:
	s_andn2_saveexec_b64 s[0:1], s[0:1]
	s_cbranch_execz .LBB5_50
; %bb.49:
	s_mov_b32 s12, 0
	s_brev_b32 s13, 8
	v_mov_b32_e32 v1, 0x100
	v_cmp_lt_f64_e64 vcc, |v[4:5]|, s[12:13]
	s_nop 1
	v_cndmask_b32_e32 v1, 0, v1, vcc
	v_ldexp_f64 v[4:5], |v[4:5]|, v1
	v_rsq_f64_e32 v[12:13], v[4:5]
	v_mov_b32_e32 v1, 0xffffff80
	v_cndmask_b32_e32 v1, 0, v1, vcc
	v_mul_f64 v[18:19], v[4:5], v[12:13]
	v_mul_f64 v[12:13], v[12:13], 0.5
	v_fma_f64 v[20:21], -v[12:13], v[18:19], 0.5
	v_fmac_f64_e32 v[18:19], v[18:19], v[20:21]
	v_fma_f64 v[22:23], -v[18:19], v[18:19], v[4:5]
	v_fmac_f64_e32 v[12:13], v[12:13], v[20:21]
	v_fmac_f64_e32 v[18:19], v[22:23], v[12:13]
	v_fma_f64 v[20:21], -v[18:19], v[18:19], v[4:5]
	v_fmac_f64_e32 v[18:19], v[20:21], v[12:13]
	v_ldexp_f64 v[12:13], v[18:19], v1
	v_mov_b32_e32 v1, 0x260
	v_cmp_class_f64_e32 vcc, v[4:5], v1
	s_nop 1
	v_cndmask_b32_e32 v5, v13, v5, vcc
	v_cndmask_b32_e32 v4, v12, v4, vcc
	v_mul_f64 v[12:13], v[16:17], -0.5
	v_mul_f64 v[2:3], v[2:3], v[12:13]
	v_div_scale_f64 v[12:13], s[12:13], v[4:5], v[4:5], v[2:3]
	v_rcp_f64_e32 v[16:17], v[12:13]
	s_nop 0
	v_fma_f64 v[18:19], -v[12:13], v[16:17], 1.0
	v_fmac_f64_e32 v[16:17], v[16:17], v[18:19]
	v_fma_f64 v[18:19], -v[12:13], v[16:17], 1.0
	v_fmac_f64_e32 v[16:17], v[16:17], v[18:19]
	v_div_scale_f64 v[18:19], vcc, v[2:3], v[4:5], v[2:3]
	v_mul_f64 v[20:21], v[18:19], v[16:17]
	v_fma_f64 v[12:13], -v[12:13], v[20:21], v[18:19]
	s_nop 1
	v_div_fmas_f64 v[12:13], v[12:13], v[16:17], v[20:21]
	v_div_fixup_f64 v[12:13], v[12:13], v[4:5], v[2:3]
.LBB5_50:
	s_or_b64 exec, exec, s[0:1]
.LBB5_51:
	s_or_b64 exec, exec, s[10:11]
	s_add_u32 s0, s4, s8
	s_addc_u32 s1, s5, s9
	v_mov_b32_e32 v15, 0
	v_lshl_add_u64 v[2:3], s[0:1], 0, v[14:15]
	v_add_co_u32_e32 v2, vcc, 0x1000, v2
	s_nop 1
	v_addc_co_u32_e32 v3, vcc, 0, v3, vcc
	global_store_dwordx4 v14, v[6:9], s[0:1]
	global_store_dwordx4 v[2:3], v[10:13], off
	s_branch .LBB5_2
.LBB5_52:
	s_getpc_b64 s[0:1]
	s_add_u32 s0, s0, _ZN2at6native25elementwise_kernel_helperILb0EZZZNS0_12_GLOBAL__N_130modified_bessel_i1_kernel_cudaERNS_18TensorIteratorBaseEENKUlvE_clEvENKUlvE_clEvEUldE_NS0_6memory8policies11unroll_baseILi256ESt5arrayIPcLm2EE23TrivialOffsetCalculatorILi1EjESF_NS8_15LoadWithoutCastENS8_16StoreWithoutCastELi4ELi1EEEEEvT0_T1_@rel32@lo+4
	s_addc_u32 s1, s1, _ZN2at6native25elementwise_kernel_helperILb0EZZZNS0_12_GLOBAL__N_130modified_bessel_i1_kernel_cudaERNS_18TensorIteratorBaseEENKUlvE_clEvENKUlvE_clEvEUldE_NS0_6memory8policies11unroll_baseILi256ESt5arrayIPcLm2EE23TrivialOffsetCalculatorILi1EjESF_NS8_15LoadWithoutCastENS8_16StoreWithoutCastELi4ELi1EEEEEvT0_T1_@rel32@hi+12
	s_mov_b32 s12, s2
	v_mov_b32_e32 v31, v0
	v_mov_b32_e32 v0, s4
	;; [unrolled: 1-line block ×6, first 2 shown]
	s_swappc_b64 s[30:31], s[0:1]
	s_endpgm
	.section	.rodata,"a",@progbits
	.p2align	6, 0x0
	.amdhsa_kernel _ZN2at6native29vectorized_elementwise_kernelILi2EZZZNS0_12_GLOBAL__N_130modified_bessel_i1_kernel_cudaERNS_18TensorIteratorBaseEENKUlvE_clEvENKUlvE_clEvEUldE_St5arrayIPcLm2EEEEviT0_T1_
		.amdhsa_group_segment_fixed_size 0
		.amdhsa_private_segment_fixed_size 0
		.amdhsa_kernarg_size 24
		.amdhsa_user_sgpr_count 2
		.amdhsa_user_sgpr_dispatch_ptr 0
		.amdhsa_user_sgpr_queue_ptr 0
		.amdhsa_user_sgpr_kernarg_segment_ptr 1
		.amdhsa_user_sgpr_dispatch_id 0
		.amdhsa_user_sgpr_kernarg_preload_length 0
		.amdhsa_user_sgpr_kernarg_preload_offset 0
		.amdhsa_user_sgpr_private_segment_size 0
		.amdhsa_uses_dynamic_stack 0
		.amdhsa_enable_private_segment 0
		.amdhsa_system_sgpr_workgroup_id_x 1
		.amdhsa_system_sgpr_workgroup_id_y 0
		.amdhsa_system_sgpr_workgroup_id_z 0
		.amdhsa_system_sgpr_workgroup_info 0
		.amdhsa_system_vgpr_workitem_id 0
		.amdhsa_next_free_vgpr 32
		.amdhsa_next_free_sgpr 33
		.amdhsa_accum_offset 32
		.amdhsa_reserve_vcc 1
		.amdhsa_float_round_mode_32 0
		.amdhsa_float_round_mode_16_64 0
		.amdhsa_float_denorm_mode_32 3
		.amdhsa_float_denorm_mode_16_64 3
		.amdhsa_dx10_clamp 1
		.amdhsa_ieee_mode 1
		.amdhsa_fp16_overflow 0
		.amdhsa_tg_split 0
		.amdhsa_exception_fp_ieee_invalid_op 0
		.amdhsa_exception_fp_denorm_src 0
		.amdhsa_exception_fp_ieee_div_zero 0
		.amdhsa_exception_fp_ieee_overflow 0
		.amdhsa_exception_fp_ieee_underflow 0
		.amdhsa_exception_fp_ieee_inexact 0
		.amdhsa_exception_int_div_zero 0
	.end_amdhsa_kernel
	.section	.text._ZN2at6native29vectorized_elementwise_kernelILi2EZZZNS0_12_GLOBAL__N_130modified_bessel_i1_kernel_cudaERNS_18TensorIteratorBaseEENKUlvE_clEvENKUlvE_clEvEUldE_St5arrayIPcLm2EEEEviT0_T1_,"axG",@progbits,_ZN2at6native29vectorized_elementwise_kernelILi2EZZZNS0_12_GLOBAL__N_130modified_bessel_i1_kernel_cudaERNS_18TensorIteratorBaseEENKUlvE_clEvENKUlvE_clEvEUldE_St5arrayIPcLm2EEEEviT0_T1_,comdat
.Lfunc_end5:
	.size	_ZN2at6native29vectorized_elementwise_kernelILi2EZZZNS0_12_GLOBAL__N_130modified_bessel_i1_kernel_cudaERNS_18TensorIteratorBaseEENKUlvE_clEvENKUlvE_clEvEUldE_St5arrayIPcLm2EEEEviT0_T1_, .Lfunc_end5-_ZN2at6native29vectorized_elementwise_kernelILi2EZZZNS0_12_GLOBAL__N_130modified_bessel_i1_kernel_cudaERNS_18TensorIteratorBaseEENKUlvE_clEvENKUlvE_clEvEUldE_St5arrayIPcLm2EEEEviT0_T1_
                                        ; -- End function
	.set _ZN2at6native29vectorized_elementwise_kernelILi2EZZZNS0_12_GLOBAL__N_130modified_bessel_i1_kernel_cudaERNS_18TensorIteratorBaseEENKUlvE_clEvENKUlvE_clEvEUldE_St5arrayIPcLm2EEEEviT0_T1_.num_vgpr, max(32, .L_ZN2at6native25elementwise_kernel_helperILb0EZZZNS0_12_GLOBAL__N_130modified_bessel_i1_kernel_cudaERNS_18TensorIteratorBaseEENKUlvE_clEvENKUlvE_clEvEUldE_NS0_6memory8policies11unroll_baseILi256ESt5arrayIPcLm2EE23TrivialOffsetCalculatorILi1EjESF_NS8_15LoadWithoutCastENS8_16StoreWithoutCastELi4ELi1EEEEEvT0_T1_.num_vgpr)
	.set _ZN2at6native29vectorized_elementwise_kernelILi2EZZZNS0_12_GLOBAL__N_130modified_bessel_i1_kernel_cudaERNS_18TensorIteratorBaseEENKUlvE_clEvENKUlvE_clEvEUldE_St5arrayIPcLm2EEEEviT0_T1_.num_agpr, max(0, .L_ZN2at6native25elementwise_kernel_helperILb0EZZZNS0_12_GLOBAL__N_130modified_bessel_i1_kernel_cudaERNS_18TensorIteratorBaseEENKUlvE_clEvENKUlvE_clEvEUldE_NS0_6memory8policies11unroll_baseILi256ESt5arrayIPcLm2EE23TrivialOffsetCalculatorILi1EjESF_NS8_15LoadWithoutCastENS8_16StoreWithoutCastELi4ELi1EEEEEvT0_T1_.num_agpr)
	.set _ZN2at6native29vectorized_elementwise_kernelILi2EZZZNS0_12_GLOBAL__N_130modified_bessel_i1_kernel_cudaERNS_18TensorIteratorBaseEENKUlvE_clEvENKUlvE_clEvEUldE_St5arrayIPcLm2EEEEviT0_T1_.numbered_sgpr, max(33, .L_ZN2at6native25elementwise_kernel_helperILb0EZZZNS0_12_GLOBAL__N_130modified_bessel_i1_kernel_cudaERNS_18TensorIteratorBaseEENKUlvE_clEvENKUlvE_clEvEUldE_NS0_6memory8policies11unroll_baseILi256ESt5arrayIPcLm2EE23TrivialOffsetCalculatorILi1EjESF_NS8_15LoadWithoutCastENS8_16StoreWithoutCastELi4ELi1EEEEEvT0_T1_.numbered_sgpr)
	.set _ZN2at6native29vectorized_elementwise_kernelILi2EZZZNS0_12_GLOBAL__N_130modified_bessel_i1_kernel_cudaERNS_18TensorIteratorBaseEENKUlvE_clEvENKUlvE_clEvEUldE_St5arrayIPcLm2EEEEviT0_T1_.num_named_barrier, max(0, .L_ZN2at6native25elementwise_kernel_helperILb0EZZZNS0_12_GLOBAL__N_130modified_bessel_i1_kernel_cudaERNS_18TensorIteratorBaseEENKUlvE_clEvENKUlvE_clEvEUldE_NS0_6memory8policies11unroll_baseILi256ESt5arrayIPcLm2EE23TrivialOffsetCalculatorILi1EjESF_NS8_15LoadWithoutCastENS8_16StoreWithoutCastELi4ELi1EEEEEvT0_T1_.num_named_barrier)
	.set _ZN2at6native29vectorized_elementwise_kernelILi2EZZZNS0_12_GLOBAL__N_130modified_bessel_i1_kernel_cudaERNS_18TensorIteratorBaseEENKUlvE_clEvENKUlvE_clEvEUldE_St5arrayIPcLm2EEEEviT0_T1_.private_seg_size, 0+max(.L_ZN2at6native25elementwise_kernel_helperILb0EZZZNS0_12_GLOBAL__N_130modified_bessel_i1_kernel_cudaERNS_18TensorIteratorBaseEENKUlvE_clEvENKUlvE_clEvEUldE_NS0_6memory8policies11unroll_baseILi256ESt5arrayIPcLm2EE23TrivialOffsetCalculatorILi1EjESF_NS8_15LoadWithoutCastENS8_16StoreWithoutCastELi4ELi1EEEEEvT0_T1_.private_seg_size)
	.set _ZN2at6native29vectorized_elementwise_kernelILi2EZZZNS0_12_GLOBAL__N_130modified_bessel_i1_kernel_cudaERNS_18TensorIteratorBaseEENKUlvE_clEvENKUlvE_clEvEUldE_St5arrayIPcLm2EEEEviT0_T1_.uses_vcc, or(1, .L_ZN2at6native25elementwise_kernel_helperILb0EZZZNS0_12_GLOBAL__N_130modified_bessel_i1_kernel_cudaERNS_18TensorIteratorBaseEENKUlvE_clEvENKUlvE_clEvEUldE_NS0_6memory8policies11unroll_baseILi256ESt5arrayIPcLm2EE23TrivialOffsetCalculatorILi1EjESF_NS8_15LoadWithoutCastENS8_16StoreWithoutCastELi4ELi1EEEEEvT0_T1_.uses_vcc)
	.set _ZN2at6native29vectorized_elementwise_kernelILi2EZZZNS0_12_GLOBAL__N_130modified_bessel_i1_kernel_cudaERNS_18TensorIteratorBaseEENKUlvE_clEvENKUlvE_clEvEUldE_St5arrayIPcLm2EEEEviT0_T1_.uses_flat_scratch, or(0, .L_ZN2at6native25elementwise_kernel_helperILb0EZZZNS0_12_GLOBAL__N_130modified_bessel_i1_kernel_cudaERNS_18TensorIteratorBaseEENKUlvE_clEvENKUlvE_clEvEUldE_NS0_6memory8policies11unroll_baseILi256ESt5arrayIPcLm2EE23TrivialOffsetCalculatorILi1EjESF_NS8_15LoadWithoutCastENS8_16StoreWithoutCastELi4ELi1EEEEEvT0_T1_.uses_flat_scratch)
	.set _ZN2at6native29vectorized_elementwise_kernelILi2EZZZNS0_12_GLOBAL__N_130modified_bessel_i1_kernel_cudaERNS_18TensorIteratorBaseEENKUlvE_clEvENKUlvE_clEvEUldE_St5arrayIPcLm2EEEEviT0_T1_.has_dyn_sized_stack, or(0, .L_ZN2at6native25elementwise_kernel_helperILb0EZZZNS0_12_GLOBAL__N_130modified_bessel_i1_kernel_cudaERNS_18TensorIteratorBaseEENKUlvE_clEvENKUlvE_clEvEUldE_NS0_6memory8policies11unroll_baseILi256ESt5arrayIPcLm2EE23TrivialOffsetCalculatorILi1EjESF_NS8_15LoadWithoutCastENS8_16StoreWithoutCastELi4ELi1EEEEEvT0_T1_.has_dyn_sized_stack)
	.set _ZN2at6native29vectorized_elementwise_kernelILi2EZZZNS0_12_GLOBAL__N_130modified_bessel_i1_kernel_cudaERNS_18TensorIteratorBaseEENKUlvE_clEvENKUlvE_clEvEUldE_St5arrayIPcLm2EEEEviT0_T1_.has_recursion, or(0, .L_ZN2at6native25elementwise_kernel_helperILb0EZZZNS0_12_GLOBAL__N_130modified_bessel_i1_kernel_cudaERNS_18TensorIteratorBaseEENKUlvE_clEvENKUlvE_clEvEUldE_NS0_6memory8policies11unroll_baseILi256ESt5arrayIPcLm2EE23TrivialOffsetCalculatorILi1EjESF_NS8_15LoadWithoutCastENS8_16StoreWithoutCastELi4ELi1EEEEEvT0_T1_.has_recursion)
	.set _ZN2at6native29vectorized_elementwise_kernelILi2EZZZNS0_12_GLOBAL__N_130modified_bessel_i1_kernel_cudaERNS_18TensorIteratorBaseEENKUlvE_clEvENKUlvE_clEvEUldE_St5arrayIPcLm2EEEEviT0_T1_.has_indirect_call, or(0, .L_ZN2at6native25elementwise_kernel_helperILb0EZZZNS0_12_GLOBAL__N_130modified_bessel_i1_kernel_cudaERNS_18TensorIteratorBaseEENKUlvE_clEvENKUlvE_clEvEUldE_NS0_6memory8policies11unroll_baseILi256ESt5arrayIPcLm2EE23TrivialOffsetCalculatorILi1EjESF_NS8_15LoadWithoutCastENS8_16StoreWithoutCastELi4ELi1EEEEEvT0_T1_.has_indirect_call)
	.section	.AMDGPU.csdata,"",@progbits
; Kernel info:
; codeLenInByte = 12848
; TotalNumSgprs: 39
; NumVgprs: 32
; NumAgprs: 0
; TotalNumVgprs: 32
; ScratchSize: 0
; MemoryBound: 0
; FloatMode: 240
; IeeeMode: 1
; LDSByteSize: 0 bytes/workgroup (compile time only)
; SGPRBlocks: 4
; VGPRBlocks: 3
; NumSGPRsForWavesPerEU: 39
; NumVGPRsForWavesPerEU: 32
; AccumOffset: 32
; Occupancy: 8
; WaveLimiterHint : 1
; COMPUTE_PGM_RSRC2:SCRATCH_EN: 0
; COMPUTE_PGM_RSRC2:USER_SGPR: 2
; COMPUTE_PGM_RSRC2:TRAP_HANDLER: 0
; COMPUTE_PGM_RSRC2:TGID_X_EN: 1
; COMPUTE_PGM_RSRC2:TGID_Y_EN: 0
; COMPUTE_PGM_RSRC2:TGID_Z_EN: 0
; COMPUTE_PGM_RSRC2:TIDIG_COMP_CNT: 0
; COMPUTE_PGM_RSRC3_GFX90A:ACCUM_OFFSET: 7
; COMPUTE_PGM_RSRC3_GFX90A:TG_SPLIT: 0
	.section	.text._ZN2at6native27unrolled_elementwise_kernelIZZZNS0_12_GLOBAL__N_130modified_bessel_i1_kernel_cudaERNS_18TensorIteratorBaseEENKUlvE_clEvENKUlvE_clEvEUldE_St5arrayIPcLm2EELi4E23TrivialOffsetCalculatorILi1EjESC_NS0_6memory15LoadWithoutCastENSD_16StoreWithoutCastEEEviT_T0_T2_T3_T4_T5_,"axG",@progbits,_ZN2at6native27unrolled_elementwise_kernelIZZZNS0_12_GLOBAL__N_130modified_bessel_i1_kernel_cudaERNS_18TensorIteratorBaseEENKUlvE_clEvENKUlvE_clEvEUldE_St5arrayIPcLm2EELi4E23TrivialOffsetCalculatorILi1EjESC_NS0_6memory15LoadWithoutCastENSD_16StoreWithoutCastEEEviT_T0_T2_T3_T4_T5_,comdat
	.globl	_ZN2at6native27unrolled_elementwise_kernelIZZZNS0_12_GLOBAL__N_130modified_bessel_i1_kernel_cudaERNS_18TensorIteratorBaseEENKUlvE_clEvENKUlvE_clEvEUldE_St5arrayIPcLm2EELi4E23TrivialOffsetCalculatorILi1EjESC_NS0_6memory15LoadWithoutCastENSD_16StoreWithoutCastEEEviT_T0_T2_T3_T4_T5_ ; -- Begin function _ZN2at6native27unrolled_elementwise_kernelIZZZNS0_12_GLOBAL__N_130modified_bessel_i1_kernel_cudaERNS_18TensorIteratorBaseEENKUlvE_clEvENKUlvE_clEvEUldE_St5arrayIPcLm2EELi4E23TrivialOffsetCalculatorILi1EjESC_NS0_6memory15LoadWithoutCastENSD_16StoreWithoutCastEEEviT_T0_T2_T3_T4_T5_
	.p2align	8
	.type	_ZN2at6native27unrolled_elementwise_kernelIZZZNS0_12_GLOBAL__N_130modified_bessel_i1_kernel_cudaERNS_18TensorIteratorBaseEENKUlvE_clEvENKUlvE_clEvEUldE_St5arrayIPcLm2EELi4E23TrivialOffsetCalculatorILi1EjESC_NS0_6memory15LoadWithoutCastENSD_16StoreWithoutCastEEEviT_T0_T2_T3_T4_T5_,@function
_ZN2at6native27unrolled_elementwise_kernelIZZZNS0_12_GLOBAL__N_130modified_bessel_i1_kernel_cudaERNS_18TensorIteratorBaseEENKUlvE_clEvENKUlvE_clEvEUldE_St5arrayIPcLm2EELi4E23TrivialOffsetCalculatorILi1EjESC_NS0_6memory15LoadWithoutCastENSD_16StoreWithoutCastEEEviT_T0_T2_T3_T4_T5_: ; @_ZN2at6native27unrolled_elementwise_kernelIZZZNS0_12_GLOBAL__N_130modified_bessel_i1_kernel_cudaERNS_18TensorIteratorBaseEENKUlvE_clEvENKUlvE_clEvEUldE_St5arrayIPcLm2EELi4E23TrivialOffsetCalculatorILi1EjESC_NS0_6memory15LoadWithoutCastENSD_16StoreWithoutCastEEEviT_T0_T2_T3_T4_T5_
; %bb.0:
	s_load_dword s3, s[0:1], 0x0
	s_load_dwordx4 s[4:7], s[0:1], 0x8
	s_lshl_b32 s0, s2, 10
	s_mov_b32 s12, s2
	v_mov_b32_e32 v31, v0
	s_waitcnt lgkmcnt(0)
	s_sub_i32 s3, s3, s0
	s_getpc_b64 s[0:1]
	s_add_u32 s0, s0, _ZN2at6native25elementwise_kernel_helperILb0EZZZNS0_12_GLOBAL__N_130modified_bessel_i1_kernel_cudaERNS_18TensorIteratorBaseEENKUlvE_clEvENKUlvE_clEvEUldE_NS0_6memory8policies11unroll_baseILi256ESt5arrayIPcLm2EE23TrivialOffsetCalculatorILi1EjESF_NS8_15LoadWithoutCastENS8_16StoreWithoutCastELi4ELi1EEEEEvT0_T1_@rel32@lo+4
	s_addc_u32 s1, s1, _ZN2at6native25elementwise_kernel_helperILb0EZZZNS0_12_GLOBAL__N_130modified_bessel_i1_kernel_cudaERNS_18TensorIteratorBaseEENKUlvE_clEvENKUlvE_clEvEUldE_NS0_6memory8policies11unroll_baseILi256ESt5arrayIPcLm2EE23TrivialOffsetCalculatorILi1EjESF_NS8_15LoadWithoutCastENS8_16StoreWithoutCastELi4ELi1EEEEEvT0_T1_@rel32@hi+12
	v_mov_b32_e32 v0, s4
	v_mov_b32_e32 v1, s5
	;; [unrolled: 1-line block ×5, first 2 shown]
	s_mov_b32 s32, 0
	s_swappc_b64 s[30:31], s[0:1]
	s_endpgm
	.section	.rodata,"a",@progbits
	.p2align	6, 0x0
	.amdhsa_kernel _ZN2at6native27unrolled_elementwise_kernelIZZZNS0_12_GLOBAL__N_130modified_bessel_i1_kernel_cudaERNS_18TensorIteratorBaseEENKUlvE_clEvENKUlvE_clEvEUldE_St5arrayIPcLm2EELi4E23TrivialOffsetCalculatorILi1EjESC_NS0_6memory15LoadWithoutCastENSD_16StoreWithoutCastEEEviT_T0_T2_T3_T4_T5_
		.amdhsa_group_segment_fixed_size 0
		.amdhsa_private_segment_fixed_size 0
		.amdhsa_kernarg_size 28
		.amdhsa_user_sgpr_count 2
		.amdhsa_user_sgpr_dispatch_ptr 0
		.amdhsa_user_sgpr_queue_ptr 0
		.amdhsa_user_sgpr_kernarg_segment_ptr 1
		.amdhsa_user_sgpr_dispatch_id 0
		.amdhsa_user_sgpr_kernarg_preload_length 0
		.amdhsa_user_sgpr_kernarg_preload_offset 0
		.amdhsa_user_sgpr_private_segment_size 0
		.amdhsa_uses_dynamic_stack 0
		.amdhsa_enable_private_segment 0
		.amdhsa_system_sgpr_workgroup_id_x 1
		.amdhsa_system_sgpr_workgroup_id_y 0
		.amdhsa_system_sgpr_workgroup_id_z 0
		.amdhsa_system_sgpr_workgroup_info 0
		.amdhsa_system_vgpr_workitem_id 0
		.amdhsa_next_free_vgpr 32
		.amdhsa_next_free_sgpr 33
		.amdhsa_accum_offset 32
		.amdhsa_reserve_vcc 1
		.amdhsa_float_round_mode_32 0
		.amdhsa_float_round_mode_16_64 0
		.amdhsa_float_denorm_mode_32 3
		.amdhsa_float_denorm_mode_16_64 3
		.amdhsa_dx10_clamp 1
		.amdhsa_ieee_mode 1
		.amdhsa_fp16_overflow 0
		.amdhsa_tg_split 0
		.amdhsa_exception_fp_ieee_invalid_op 0
		.amdhsa_exception_fp_denorm_src 0
		.amdhsa_exception_fp_ieee_div_zero 0
		.amdhsa_exception_fp_ieee_overflow 0
		.amdhsa_exception_fp_ieee_underflow 0
		.amdhsa_exception_fp_ieee_inexact 0
		.amdhsa_exception_int_div_zero 0
	.end_amdhsa_kernel
	.section	.text._ZN2at6native27unrolled_elementwise_kernelIZZZNS0_12_GLOBAL__N_130modified_bessel_i1_kernel_cudaERNS_18TensorIteratorBaseEENKUlvE_clEvENKUlvE_clEvEUldE_St5arrayIPcLm2EELi4E23TrivialOffsetCalculatorILi1EjESC_NS0_6memory15LoadWithoutCastENSD_16StoreWithoutCastEEEviT_T0_T2_T3_T4_T5_,"axG",@progbits,_ZN2at6native27unrolled_elementwise_kernelIZZZNS0_12_GLOBAL__N_130modified_bessel_i1_kernel_cudaERNS_18TensorIteratorBaseEENKUlvE_clEvENKUlvE_clEvEUldE_St5arrayIPcLm2EELi4E23TrivialOffsetCalculatorILi1EjESC_NS0_6memory15LoadWithoutCastENSD_16StoreWithoutCastEEEviT_T0_T2_T3_T4_T5_,comdat
.Lfunc_end6:
	.size	_ZN2at6native27unrolled_elementwise_kernelIZZZNS0_12_GLOBAL__N_130modified_bessel_i1_kernel_cudaERNS_18TensorIteratorBaseEENKUlvE_clEvENKUlvE_clEvEUldE_St5arrayIPcLm2EELi4E23TrivialOffsetCalculatorILi1EjESC_NS0_6memory15LoadWithoutCastENSD_16StoreWithoutCastEEEviT_T0_T2_T3_T4_T5_, .Lfunc_end6-_ZN2at6native27unrolled_elementwise_kernelIZZZNS0_12_GLOBAL__N_130modified_bessel_i1_kernel_cudaERNS_18TensorIteratorBaseEENKUlvE_clEvENKUlvE_clEvEUldE_St5arrayIPcLm2EELi4E23TrivialOffsetCalculatorILi1EjESC_NS0_6memory15LoadWithoutCastENSD_16StoreWithoutCastEEEviT_T0_T2_T3_T4_T5_
                                        ; -- End function
	.set _ZN2at6native27unrolled_elementwise_kernelIZZZNS0_12_GLOBAL__N_130modified_bessel_i1_kernel_cudaERNS_18TensorIteratorBaseEENKUlvE_clEvENKUlvE_clEvEUldE_St5arrayIPcLm2EELi4E23TrivialOffsetCalculatorILi1EjESC_NS0_6memory15LoadWithoutCastENSD_16StoreWithoutCastEEEviT_T0_T2_T3_T4_T5_.num_vgpr, max(32, .L_ZN2at6native25elementwise_kernel_helperILb0EZZZNS0_12_GLOBAL__N_130modified_bessel_i1_kernel_cudaERNS_18TensorIteratorBaseEENKUlvE_clEvENKUlvE_clEvEUldE_NS0_6memory8policies11unroll_baseILi256ESt5arrayIPcLm2EE23TrivialOffsetCalculatorILi1EjESF_NS8_15LoadWithoutCastENS8_16StoreWithoutCastELi4ELi1EEEEEvT0_T1_.num_vgpr)
	.set _ZN2at6native27unrolled_elementwise_kernelIZZZNS0_12_GLOBAL__N_130modified_bessel_i1_kernel_cudaERNS_18TensorIteratorBaseEENKUlvE_clEvENKUlvE_clEvEUldE_St5arrayIPcLm2EELi4E23TrivialOffsetCalculatorILi1EjESC_NS0_6memory15LoadWithoutCastENSD_16StoreWithoutCastEEEviT_T0_T2_T3_T4_T5_.num_agpr, max(0, .L_ZN2at6native25elementwise_kernel_helperILb0EZZZNS0_12_GLOBAL__N_130modified_bessel_i1_kernel_cudaERNS_18TensorIteratorBaseEENKUlvE_clEvENKUlvE_clEvEUldE_NS0_6memory8policies11unroll_baseILi256ESt5arrayIPcLm2EE23TrivialOffsetCalculatorILi1EjESF_NS8_15LoadWithoutCastENS8_16StoreWithoutCastELi4ELi1EEEEEvT0_T1_.num_agpr)
	.set _ZN2at6native27unrolled_elementwise_kernelIZZZNS0_12_GLOBAL__N_130modified_bessel_i1_kernel_cudaERNS_18TensorIteratorBaseEENKUlvE_clEvENKUlvE_clEvEUldE_St5arrayIPcLm2EELi4E23TrivialOffsetCalculatorILi1EjESC_NS0_6memory15LoadWithoutCastENSD_16StoreWithoutCastEEEviT_T0_T2_T3_T4_T5_.numbered_sgpr, max(33, .L_ZN2at6native25elementwise_kernel_helperILb0EZZZNS0_12_GLOBAL__N_130modified_bessel_i1_kernel_cudaERNS_18TensorIteratorBaseEENKUlvE_clEvENKUlvE_clEvEUldE_NS0_6memory8policies11unroll_baseILi256ESt5arrayIPcLm2EE23TrivialOffsetCalculatorILi1EjESF_NS8_15LoadWithoutCastENS8_16StoreWithoutCastELi4ELi1EEEEEvT0_T1_.numbered_sgpr)
	.set _ZN2at6native27unrolled_elementwise_kernelIZZZNS0_12_GLOBAL__N_130modified_bessel_i1_kernel_cudaERNS_18TensorIteratorBaseEENKUlvE_clEvENKUlvE_clEvEUldE_St5arrayIPcLm2EELi4E23TrivialOffsetCalculatorILi1EjESC_NS0_6memory15LoadWithoutCastENSD_16StoreWithoutCastEEEviT_T0_T2_T3_T4_T5_.num_named_barrier, max(0, .L_ZN2at6native25elementwise_kernel_helperILb0EZZZNS0_12_GLOBAL__N_130modified_bessel_i1_kernel_cudaERNS_18TensorIteratorBaseEENKUlvE_clEvENKUlvE_clEvEUldE_NS0_6memory8policies11unroll_baseILi256ESt5arrayIPcLm2EE23TrivialOffsetCalculatorILi1EjESF_NS8_15LoadWithoutCastENS8_16StoreWithoutCastELi4ELi1EEEEEvT0_T1_.num_named_barrier)
	.set _ZN2at6native27unrolled_elementwise_kernelIZZZNS0_12_GLOBAL__N_130modified_bessel_i1_kernel_cudaERNS_18TensorIteratorBaseEENKUlvE_clEvENKUlvE_clEvEUldE_St5arrayIPcLm2EELi4E23TrivialOffsetCalculatorILi1EjESC_NS0_6memory15LoadWithoutCastENSD_16StoreWithoutCastEEEviT_T0_T2_T3_T4_T5_.private_seg_size, 0+max(.L_ZN2at6native25elementwise_kernel_helperILb0EZZZNS0_12_GLOBAL__N_130modified_bessel_i1_kernel_cudaERNS_18TensorIteratorBaseEENKUlvE_clEvENKUlvE_clEvEUldE_NS0_6memory8policies11unroll_baseILi256ESt5arrayIPcLm2EE23TrivialOffsetCalculatorILi1EjESF_NS8_15LoadWithoutCastENS8_16StoreWithoutCastELi4ELi1EEEEEvT0_T1_.private_seg_size)
	.set _ZN2at6native27unrolled_elementwise_kernelIZZZNS0_12_GLOBAL__N_130modified_bessel_i1_kernel_cudaERNS_18TensorIteratorBaseEENKUlvE_clEvENKUlvE_clEvEUldE_St5arrayIPcLm2EELi4E23TrivialOffsetCalculatorILi1EjESC_NS0_6memory15LoadWithoutCastENSD_16StoreWithoutCastEEEviT_T0_T2_T3_T4_T5_.uses_vcc, or(1, .L_ZN2at6native25elementwise_kernel_helperILb0EZZZNS0_12_GLOBAL__N_130modified_bessel_i1_kernel_cudaERNS_18TensorIteratorBaseEENKUlvE_clEvENKUlvE_clEvEUldE_NS0_6memory8policies11unroll_baseILi256ESt5arrayIPcLm2EE23TrivialOffsetCalculatorILi1EjESF_NS8_15LoadWithoutCastENS8_16StoreWithoutCastELi4ELi1EEEEEvT0_T1_.uses_vcc)
	.set _ZN2at6native27unrolled_elementwise_kernelIZZZNS0_12_GLOBAL__N_130modified_bessel_i1_kernel_cudaERNS_18TensorIteratorBaseEENKUlvE_clEvENKUlvE_clEvEUldE_St5arrayIPcLm2EELi4E23TrivialOffsetCalculatorILi1EjESC_NS0_6memory15LoadWithoutCastENSD_16StoreWithoutCastEEEviT_T0_T2_T3_T4_T5_.uses_flat_scratch, or(0, .L_ZN2at6native25elementwise_kernel_helperILb0EZZZNS0_12_GLOBAL__N_130modified_bessel_i1_kernel_cudaERNS_18TensorIteratorBaseEENKUlvE_clEvENKUlvE_clEvEUldE_NS0_6memory8policies11unroll_baseILi256ESt5arrayIPcLm2EE23TrivialOffsetCalculatorILi1EjESF_NS8_15LoadWithoutCastENS8_16StoreWithoutCastELi4ELi1EEEEEvT0_T1_.uses_flat_scratch)
	.set _ZN2at6native27unrolled_elementwise_kernelIZZZNS0_12_GLOBAL__N_130modified_bessel_i1_kernel_cudaERNS_18TensorIteratorBaseEENKUlvE_clEvENKUlvE_clEvEUldE_St5arrayIPcLm2EELi4E23TrivialOffsetCalculatorILi1EjESC_NS0_6memory15LoadWithoutCastENSD_16StoreWithoutCastEEEviT_T0_T2_T3_T4_T5_.has_dyn_sized_stack, or(0, .L_ZN2at6native25elementwise_kernel_helperILb0EZZZNS0_12_GLOBAL__N_130modified_bessel_i1_kernel_cudaERNS_18TensorIteratorBaseEENKUlvE_clEvENKUlvE_clEvEUldE_NS0_6memory8policies11unroll_baseILi256ESt5arrayIPcLm2EE23TrivialOffsetCalculatorILi1EjESF_NS8_15LoadWithoutCastENS8_16StoreWithoutCastELi4ELi1EEEEEvT0_T1_.has_dyn_sized_stack)
	.set _ZN2at6native27unrolled_elementwise_kernelIZZZNS0_12_GLOBAL__N_130modified_bessel_i1_kernel_cudaERNS_18TensorIteratorBaseEENKUlvE_clEvENKUlvE_clEvEUldE_St5arrayIPcLm2EELi4E23TrivialOffsetCalculatorILi1EjESC_NS0_6memory15LoadWithoutCastENSD_16StoreWithoutCastEEEviT_T0_T2_T3_T4_T5_.has_recursion, or(0, .L_ZN2at6native25elementwise_kernel_helperILb0EZZZNS0_12_GLOBAL__N_130modified_bessel_i1_kernel_cudaERNS_18TensorIteratorBaseEENKUlvE_clEvENKUlvE_clEvEUldE_NS0_6memory8policies11unroll_baseILi256ESt5arrayIPcLm2EE23TrivialOffsetCalculatorILi1EjESF_NS8_15LoadWithoutCastENS8_16StoreWithoutCastELi4ELi1EEEEEvT0_T1_.has_recursion)
	.set _ZN2at6native27unrolled_elementwise_kernelIZZZNS0_12_GLOBAL__N_130modified_bessel_i1_kernel_cudaERNS_18TensorIteratorBaseEENKUlvE_clEvENKUlvE_clEvEUldE_St5arrayIPcLm2EELi4E23TrivialOffsetCalculatorILi1EjESC_NS0_6memory15LoadWithoutCastENSD_16StoreWithoutCastEEEviT_T0_T2_T3_T4_T5_.has_indirect_call, or(0, .L_ZN2at6native25elementwise_kernel_helperILb0EZZZNS0_12_GLOBAL__N_130modified_bessel_i1_kernel_cudaERNS_18TensorIteratorBaseEENKUlvE_clEvENKUlvE_clEvEUldE_NS0_6memory8policies11unroll_baseILi256ESt5arrayIPcLm2EE23TrivialOffsetCalculatorILi1EjESF_NS8_15LoadWithoutCastENS8_16StoreWithoutCastELi4ELi1EEEEEvT0_T1_.has_indirect_call)
	.section	.AMDGPU.csdata,"",@progbits
; Kernel info:
; codeLenInByte = 88
; TotalNumSgprs: 39
; NumVgprs: 32
; NumAgprs: 0
; TotalNumVgprs: 32
; ScratchSize: 0
; MemoryBound: 0
; FloatMode: 240
; IeeeMode: 1
; LDSByteSize: 0 bytes/workgroup (compile time only)
; SGPRBlocks: 4
; VGPRBlocks: 3
; NumSGPRsForWavesPerEU: 39
; NumVGPRsForWavesPerEU: 32
; AccumOffset: 32
; Occupancy: 8
; WaveLimiterHint : 0
; COMPUTE_PGM_RSRC2:SCRATCH_EN: 0
; COMPUTE_PGM_RSRC2:USER_SGPR: 2
; COMPUTE_PGM_RSRC2:TRAP_HANDLER: 0
; COMPUTE_PGM_RSRC2:TGID_X_EN: 1
; COMPUTE_PGM_RSRC2:TGID_Y_EN: 0
; COMPUTE_PGM_RSRC2:TGID_Z_EN: 0
; COMPUTE_PGM_RSRC2:TIDIG_COMP_CNT: 0
; COMPUTE_PGM_RSRC3_GFX90A:ACCUM_OFFSET: 7
; COMPUTE_PGM_RSRC3_GFX90A:TG_SPLIT: 0
	.section	.text._ZN2at6native32elementwise_kernel_manual_unrollILi128ELi4EZNS0_22gpu_kernel_impl_nocastIZZZNS0_12_GLOBAL__N_130modified_bessel_i1_kernel_cudaERNS_18TensorIteratorBaseEENKUlvE_clEvENKUlvE_clEvEUldE_EEvS5_RKT_EUlibE_EEviT1_,"axG",@progbits,_ZN2at6native32elementwise_kernel_manual_unrollILi128ELi4EZNS0_22gpu_kernel_impl_nocastIZZZNS0_12_GLOBAL__N_130modified_bessel_i1_kernel_cudaERNS_18TensorIteratorBaseEENKUlvE_clEvENKUlvE_clEvEUldE_EEvS5_RKT_EUlibE_EEviT1_,comdat
	.globl	_ZN2at6native32elementwise_kernel_manual_unrollILi128ELi4EZNS0_22gpu_kernel_impl_nocastIZZZNS0_12_GLOBAL__N_130modified_bessel_i1_kernel_cudaERNS_18TensorIteratorBaseEENKUlvE_clEvENKUlvE_clEvEUldE_EEvS5_RKT_EUlibE_EEviT1_ ; -- Begin function _ZN2at6native32elementwise_kernel_manual_unrollILi128ELi4EZNS0_22gpu_kernel_impl_nocastIZZZNS0_12_GLOBAL__N_130modified_bessel_i1_kernel_cudaERNS_18TensorIteratorBaseEENKUlvE_clEvENKUlvE_clEvEUldE_EEvS5_RKT_EUlibE_EEviT1_
	.p2align	8
	.type	_ZN2at6native32elementwise_kernel_manual_unrollILi128ELi4EZNS0_22gpu_kernel_impl_nocastIZZZNS0_12_GLOBAL__N_130modified_bessel_i1_kernel_cudaERNS_18TensorIteratorBaseEENKUlvE_clEvENKUlvE_clEvEUldE_EEvS5_RKT_EUlibE_EEviT1_,@function
_ZN2at6native32elementwise_kernel_manual_unrollILi128ELi4EZNS0_22gpu_kernel_impl_nocastIZZZNS0_12_GLOBAL__N_130modified_bessel_i1_kernel_cudaERNS_18TensorIteratorBaseEENKUlvE_clEvENKUlvE_clEvEUldE_EEvS5_RKT_EUlibE_EEviT1_: ; @_ZN2at6native32elementwise_kernel_manual_unrollILi128ELi4EZNS0_22gpu_kernel_impl_nocastIZZZNS0_12_GLOBAL__N_130modified_bessel_i1_kernel_cudaERNS_18TensorIteratorBaseEENKUlvE_clEvENKUlvE_clEvEUldE_EEvS5_RKT_EUlibE_EEviT1_
; %bb.0:
	s_load_dword s55, s[0:1], 0x0
	s_load_dword s33, s[0:1], 0x8
	s_add_u32 s34, s0, 8
	s_addc_u32 s35, s1, 0
	v_lshl_or_b32 v12, s2, 9, v0
	v_or_b32_e32 v16, 0x180, v12
	s_waitcnt lgkmcnt(0)
	s_add_i32 s54, s33, -1
	s_cmp_gt_u32 s54, 1
	v_cmp_le_i32_e32 vcc, s55, v16
	s_cselect_b64 s[36:37], -1, 0
	s_and_saveexec_b64 s[0:1], vcc
	s_xor_b64 s[38:39], exec, s[0:1]
	s_cbranch_execz .LBB7_8
; %bb.1:
	s_load_dwordx4 s[24:27], s[34:35], 0x4
	s_load_dwordx2 s[40:41], s[34:35], 0x14
	s_load_dwordx4 s[20:23], s[34:35], 0xc4
	s_load_dwordx4 s[16:19], s[34:35], 0x148
	s_cmp_lg_u32 s33, 0
	s_cselect_b64 s[46:47], -1, 0
	s_add_u32 s44, s34, 0xc4
	s_addc_u32 s45, s35, 0
	s_min_u32 s56, s54, 15
	s_cmp_gt_u32 s33, 1
	s_cselect_b64 s[42:43], -1, 0
	v_cmp_gt_i32_e32 vcc, s55, v12
	s_and_saveexec_b64 s[48:49], vcc
	s_cbranch_execz .LBB7_15
; %bb.2:
	s_andn2_b64 vcc, exec, s[36:37]
	s_cbranch_vccnz .LBB7_23
; %bb.3:
	s_andn2_b64 vcc, exec, s[46:47]
	s_cbranch_vccnz .LBB7_123
; %bb.4:
	s_add_i32 s58, s56, 1
	s_cmp_eq_u32 s54, 2
	s_cbranch_scc1 .LBB7_125
; %bb.5:
	s_and_b32 s57, s58, 28
	s_mov_b32 s59, 0
	v_mov_b32_e32 v0, 0
	v_mov_b32_e32 v2, 0
	s_mov_b64 s[50:51], s[34:35]
	s_mov_b64 s[52:53], s[44:45]
	v_mov_b32_e32 v4, v12
.LBB7_6:                                ; =>This Inner Loop Header: Depth=1
	s_load_dwordx8 s[8:15], s[50:51], 0x4
	s_load_dwordx4 s[28:31], s[50:51], 0x24
	s_load_dwordx8 s[0:7], s[52:53], 0x0
	s_add_u32 s50, s50, 48
	s_addc_u32 s51, s51, 0
	s_waitcnt lgkmcnt(0)
	v_mul_hi_u32 v1, s9, v4
	v_add_u32_e32 v1, v4, v1
	v_lshrrev_b32_e32 v1, s10, v1
	v_mul_lo_u32 v3, v1, s8
	v_mul_hi_u32 v5, s12, v1
	v_sub_u32_e32 v3, v4, v3
	v_add_u32_e32 v4, v1, v5
	v_lshrrev_b32_e32 v4, s13, v4
	v_mul_lo_u32 v6, v4, s11
	v_mul_hi_u32 v7, s15, v4
	v_sub_u32_e32 v1, v1, v6
	v_add_u32_e32 v6, v4, v7
	v_mul_lo_u32 v5, v3, s1
	v_mul_lo_u32 v3, v3, s0
	;; [unrolled: 1-line block ×4, first 2 shown]
	v_lshrrev_b32_e32 v6, s28, v6
	v_add3_u32 v0, v3, v0, v1
	v_mul_hi_u32 v3, s30, v6
	v_add3_u32 v1, v5, v2, v7
	v_mul_lo_u32 v2, v6, s14
	v_add_u32_e32 v3, v6, v3
	v_sub_u32_e32 v2, v4, v2
	v_lshrrev_b32_e32 v4, s31, v3
	s_add_i32 s59, s59, 4
	v_mul_lo_u32 v3, v4, s29
	s_add_u32 s52, s52, 32
	v_sub_u32_e32 v3, v6, v3
	s_addc_u32 s53, s53, 0
	v_mul_lo_u32 v5, v2, s4
	v_mul_lo_u32 v2, v2, s5
	;; [unrolled: 1-line block ×4, first 2 shown]
	s_cmp_lg_u32 s57, s59
	v_add3_u32 v2, v2, v1, v3
	v_add3_u32 v0, v5, v0, v6
	s_cbranch_scc1 .LBB7_6
; %bb.7:
	v_mov_b32_e32 v1, v2
	s_branch .LBB7_126
.LBB7_8:
	s_andn2_saveexec_b64 s[0:1], s[38:39]
	s_cbranch_execz .LBB7_176
.LBB7_9:
	v_cndmask_b32_e64 v0, 0, 1, s[36:37]
	v_cmp_ne_u32_e64 s[0:1], 1, v0
	s_andn2_b64 vcc, exec, s[36:37]
	s_cbranch_vccnz .LBB7_22
; %bb.10:
	s_cmp_lg_u32 s33, 0
	s_waitcnt lgkmcnt(0)
	s_mov_b32 s26, 0
	s_cbranch_scc0 .LBB7_25
; %bb.11:
	s_min_u32 s27, s54, 15
	s_add_i32 s27, s27, 1
	s_cmp_eq_u32 s54, 2
	s_cbranch_scc1 .LBB7_26
; %bb.12:
	s_and_b32 s26, s27, 28
	s_add_u32 s2, s34, 0xc4
	s_addc_u32 s3, s35, 0
	s_mov_b32 s28, 0
	v_mov_b32_e32 v0, 0
	v_mov_b32_e32 v10, 0
	s_mov_b64 s[24:25], s[34:35]
	v_mov_b32_e32 v2, v12
.LBB7_13:                               ; =>This Inner Loop Header: Depth=1
	s_load_dwordx8 s[12:19], s[24:25], 0x4
	s_load_dwordx4 s[20:23], s[24:25], 0x24
	s_load_dwordx8 s[4:11], s[2:3], 0x0
	s_add_u32 s24, s24, 48
	s_addc_u32 s25, s25, 0
	s_waitcnt lgkmcnt(0)
	v_mul_hi_u32 v1, s13, v2
	v_add_u32_e32 v1, v2, v1
	v_lshrrev_b32_e32 v1, s14, v1
	v_mul_lo_u32 v3, v1, s12
	v_mul_hi_u32 v4, s16, v1
	v_sub_u32_e32 v2, v2, v3
	v_add_u32_e32 v3, v1, v4
	v_lshrrev_b32_e32 v3, s17, v3
	v_mul_lo_u32 v5, v3, s15
	v_mul_hi_u32 v6, s19, v3
	v_sub_u32_e32 v1, v1, v5
	v_add_u32_e32 v5, v3, v6
	v_mul_lo_u32 v4, v2, s5
	v_mul_lo_u32 v2, v2, s4
	;; [unrolled: 1-line block ×4, first 2 shown]
	v_lshrrev_b32_e32 v5, s20, v5
	v_add3_u32 v0, v2, v0, v1
	v_add3_u32 v1, v4, v10, v6
	v_mul_lo_u32 v2, v5, s18
	v_mul_hi_u32 v4, s22, v5
	v_sub_u32_e32 v2, v3, v2
	v_add_u32_e32 v3, v5, v4
	v_mul_lo_u32 v4, v2, s8
	v_mul_lo_u32 v6, v2, s9
	v_lshrrev_b32_e32 v2, s23, v3
	s_add_i32 s28, s28, 4
	v_mul_lo_u32 v3, v2, s21
	s_add_u32 s2, s2, 32
	v_sub_u32_e32 v3, v5, v3
	s_addc_u32 s3, s3, 0
	v_mul_lo_u32 v5, v3, s10
	v_mul_lo_u32 v3, v3, s11
	s_cmp_lg_u32 s26, s28
	v_add3_u32 v10, v6, v1, v3
	v_add3_u32 v0, v4, v0, v5
	s_cbranch_scc1 .LBB7_13
; %bb.14:
	v_mov_b32_e32 v1, v10
	s_and_b32 s6, s27, 3
	s_cmp_eq_u32 s6, 0
	s_cbranch_scc0 .LBB7_27
	s_branch .LBB7_29
.LBB7_15:
	s_or_b64 exec, exec, s[48:49]
	v_cmp_gt_i32_e32 vcc, s55, v12
	s_and_saveexec_b64 s[48:49], vcc
	s_cbranch_execz .LBB7_145
.LBB7_16:
	s_andn2_b64 vcc, exec, s[36:37]
	s_cbranch_vccnz .LBB7_24
; %bb.17:
	s_andn2_b64 vcc, exec, s[46:47]
	s_cbranch_vccnz .LBB7_124
; %bb.18:
	s_add_i32 s58, s56, 1
	s_cmp_eq_u32 s54, 2
	s_cbranch_scc1 .LBB7_154
; %bb.19:
	s_and_b32 s57, s58, 28
	s_mov_b32 s59, 0
	v_mov_b32_e32 v0, 0
	v_mov_b32_e32 v2, 0
	s_mov_b64 s[50:51], s[34:35]
	s_mov_b64 s[52:53], s[44:45]
	v_mov_b32_e32 v4, v12
.LBB7_20:                               ; =>This Inner Loop Header: Depth=1
	s_load_dwordx8 s[8:15], s[50:51], 0x4
	s_load_dwordx4 s[28:31], s[50:51], 0x24
	s_load_dwordx8 s[0:7], s[52:53], 0x0
	s_add_u32 s50, s50, 48
	s_addc_u32 s51, s51, 0
	s_waitcnt lgkmcnt(0)
	v_mul_hi_u32 v1, s9, v4
	v_add_u32_e32 v1, v4, v1
	v_lshrrev_b32_e32 v1, s10, v1
	v_mul_lo_u32 v3, v1, s8
	v_mul_hi_u32 v5, s12, v1
	v_sub_u32_e32 v3, v4, v3
	v_add_u32_e32 v4, v1, v5
	v_lshrrev_b32_e32 v4, s13, v4
	v_mul_lo_u32 v6, v4, s11
	v_mul_hi_u32 v7, s15, v4
	v_sub_u32_e32 v1, v1, v6
	v_add_u32_e32 v6, v4, v7
	v_mul_lo_u32 v5, v3, s1
	v_mul_lo_u32 v3, v3, s0
	;; [unrolled: 1-line block ×4, first 2 shown]
	v_lshrrev_b32_e32 v6, s28, v6
	v_add3_u32 v0, v3, v0, v1
	v_mul_hi_u32 v3, s30, v6
	v_add3_u32 v1, v5, v2, v7
	v_mul_lo_u32 v2, v6, s14
	v_add_u32_e32 v3, v6, v3
	v_sub_u32_e32 v2, v4, v2
	v_lshrrev_b32_e32 v4, s31, v3
	s_add_i32 s59, s59, 4
	v_mul_lo_u32 v3, v4, s29
	s_add_u32 s52, s52, 32
	v_sub_u32_e32 v3, v6, v3
	s_addc_u32 s53, s53, 0
	v_mul_lo_u32 v5, v2, s4
	v_mul_lo_u32 v2, v2, s5
	v_mul_lo_u32 v6, v3, s6
	v_mul_lo_u32 v3, v3, s7
	s_cmp_eq_u32 s57, s59
	v_add3_u32 v2, v2, v1, v3
	v_add3_u32 v0, v5, v0, v6
	s_cbranch_scc0 .LBB7_20
; %bb.21:
	v_mov_b32_e32 v1, v2
	s_branch .LBB7_155
.LBB7_22:
                                        ; implicit-def: $vgpr10
                                        ; implicit-def: $vgpr0
	s_branch .LBB7_30
.LBB7_23:
                                        ; implicit-def: $vgpr2
                                        ; implicit-def: $vgpr0
	s_branch .LBB7_130
.LBB7_24:
                                        ; implicit-def: $vgpr2
                                        ; implicit-def: $vgpr0
	s_branch .LBB7_159
.LBB7_25:
	v_mov_b32_e32 v10, 0
	v_mov_b32_e32 v0, 0
	s_branch .LBB7_29
.LBB7_26:
	v_mov_b32_e32 v0, 0
                                        ; implicit-def: $vgpr10
	v_mov_b32_e32 v1, v0
	v_mov_b32_e32 v2, v12
	s_and_b32 s6, s27, 3
	s_cmp_eq_u32 s6, 0
	s_cbranch_scc1 .LBB7_29
.LBB7_27:
	s_lshl_b32 s2, s26, 3
	s_add_u32 s2, s34, s2
	s_addc_u32 s3, s35, 0
	s_add_u32 s2, s2, 0xc4
	s_addc_u32 s3, s3, 0
	s_mul_i32 s4, s26, 12
	s_add_u32 s4, s34, s4
	s_addc_u32 s5, s35, 0
.LBB7_28:                               ; =>This Inner Loop Header: Depth=1
	s_load_dwordx2 s[8:9], s[4:5], 0x4
	s_load_dword s7, s[4:5], 0xc
	s_load_dwordx2 s[10:11], s[2:3], 0x0
	v_mov_b32_e32 v4, v1
	s_add_u32 s4, s4, 12
	s_waitcnt lgkmcnt(0)
	v_mul_hi_u32 v1, s9, v2
	v_add_u32_e32 v1, v2, v1
	v_lshrrev_b32_e32 v1, s7, v1
	s_addc_u32 s5, s5, 0
	v_mul_lo_u32 v3, v1, s8
	s_add_u32 s2, s2, 8
	v_sub_u32_e32 v3, v2, v3
	s_addc_u32 s3, s3, 0
	s_add_i32 s6, s6, -1
	v_mov_b32_e32 v2, v1
	v_mad_u64_u32 v[10:11], s[8:9], v3, s11, v[4:5]
	v_mad_u64_u32 v[0:1], s[8:9], v3, s10, v[0:1]
	s_cmp_lg_u32 s6, 0
	v_mov_b32_e32 v1, v10
	s_cbranch_scc1 .LBB7_28
.LBB7_29:
	s_cbranch_execnz .LBB7_32
.LBB7_30:
	s_load_dwordx4 s[4:7], s[34:35], 0x4
	s_load_dwordx2 s[2:3], s[34:35], 0xc4
	s_cmp_lt_u32 s33, 2
	s_waitcnt lgkmcnt(0)
	v_mul_hi_u32 v0, s5, v12
	v_add_u32_e32 v0, v12, v0
	v_lshrrev_b32_e32 v1, s6, v0
	v_mul_lo_u32 v0, v1, s4
	v_sub_u32_e32 v0, v12, v0
	v_mul_lo_u32 v10, v0, s3
	v_mul_lo_u32 v0, v0, s2
	s_cbranch_scc1 .LBB7_32
; %bb.31:
	s_load_dwordx4 s[4:7], s[34:35], 0x10
	s_load_dwordx2 s[2:3], s[34:35], 0xcc
	s_waitcnt lgkmcnt(0)
	v_mul_hi_u32 v2, s5, v1
	v_add_u32_e32 v2, v1, v2
	v_lshrrev_b32_e32 v2, s6, v2
	v_mul_lo_u32 v2, v2, s4
	v_sub_u32_e32 v2, v1, v2
	v_mad_u64_u32 v[0:1], s[4:5], v2, s2, v[0:1]
	v_mad_u64_u32 v[10:11], s[2:3], v2, s3, v[10:11]
.LBB7_32:
	s_and_b64 vcc, exec, s[0:1]
	v_add_u32_e32 v4, 0x80, v12
	s_cbranch_vccnz .LBB7_38
; %bb.33:
	s_cmp_lg_u32 s33, 0
	s_waitcnt lgkmcnt(0)
	s_mov_b32 s26, 0
	s_cbranch_scc0 .LBB7_39
; %bb.34:
	s_min_u32 s27, s54, 15
	s_add_i32 s27, s27, 1
	s_cmp_eq_u32 s54, 2
	s_cbranch_scc1 .LBB7_40
; %bb.35:
	s_and_b32 s26, s27, 28
	s_add_u32 s2, s34, 0xc4
	s_addc_u32 s3, s35, 0
	s_mov_b32 s28, 0
	v_mov_b32_e32 v2, 0
	v_mov_b32_e32 v14, 0
	s_mov_b64 s[24:25], s[34:35]
	v_mov_b32_e32 v5, v4
.LBB7_36:                               ; =>This Inner Loop Header: Depth=1
	s_load_dwordx8 s[12:19], s[24:25], 0x4
	s_load_dwordx4 s[20:23], s[24:25], 0x24
	s_load_dwordx8 s[4:11], s[2:3], 0x0
	s_add_u32 s24, s24, 48
	s_addc_u32 s25, s25, 0
	s_waitcnt lgkmcnt(0)
	v_mul_hi_u32 v1, s13, v5
	v_add_u32_e32 v1, v5, v1
	v_lshrrev_b32_e32 v1, s14, v1
	v_mul_lo_u32 v3, v1, s12
	v_mul_hi_u32 v6, s16, v1
	v_sub_u32_e32 v3, v5, v3
	v_add_u32_e32 v5, v1, v6
	v_lshrrev_b32_e32 v5, s17, v5
	v_mul_lo_u32 v7, v5, s15
	v_mul_hi_u32 v8, s19, v5
	v_sub_u32_e32 v1, v1, v7
	v_add_u32_e32 v7, v5, v8
	v_mul_lo_u32 v6, v3, s5
	v_mul_lo_u32 v3, v3, s4
	;; [unrolled: 1-line block ×4, first 2 shown]
	v_lshrrev_b32_e32 v7, s20, v7
	v_add3_u32 v1, v3, v2, v1
	v_add3_u32 v2, v6, v14, v8
	v_mul_lo_u32 v3, v7, s18
	v_mul_hi_u32 v6, s22, v7
	v_sub_u32_e32 v3, v5, v3
	v_add_u32_e32 v5, v7, v6
	v_lshrrev_b32_e32 v5, s23, v5
	s_add_i32 s28, s28, 4
	v_mul_lo_u32 v8, v5, s21
	s_add_u32 s2, s2, 32
	v_sub_u32_e32 v7, v7, v8
	s_addc_u32 s3, s3, 0
	v_mul_lo_u32 v6, v3, s8
	v_mul_lo_u32 v3, v3, s9
	;; [unrolled: 1-line block ×4, first 2 shown]
	s_cmp_lg_u32 s26, s28
	v_add3_u32 v14, v3, v2, v7
	v_add3_u32 v2, v6, v1, v8
	s_cbranch_scc1 .LBB7_36
; %bb.37:
	v_mov_b32_e32 v1, v14
	s_and_b32 s6, s27, 3
	s_cmp_eq_u32 s6, 0
	s_cbranch_scc0 .LBB7_41
	s_branch .LBB7_43
.LBB7_38:
                                        ; implicit-def: $vgpr14
                                        ; implicit-def: $vgpr2
	s_branch .LBB7_44
.LBB7_39:
	v_mov_b32_e32 v14, 0
	v_mov_b32_e32 v2, 0
	s_branch .LBB7_43
.LBB7_40:
	v_mov_b32_e32 v2, 0
                                        ; implicit-def: $vgpr14
	v_mov_b32_e32 v1, v2
	v_mov_b32_e32 v5, v4
	s_and_b32 s6, s27, 3
	s_cmp_eq_u32 s6, 0
	s_cbranch_scc1 .LBB7_43
.LBB7_41:
	s_lshl_b32 s2, s26, 3
	s_add_u32 s2, s34, s2
	s_addc_u32 s3, s35, 0
	s_add_u32 s2, s2, 0xc4
	s_addc_u32 s3, s3, 0
	s_mul_i32 s4, s26, 12
	s_add_u32 s4, s34, s4
	s_addc_u32 s5, s35, 0
.LBB7_42:                               ; =>This Inner Loop Header: Depth=1
	s_load_dwordx2 s[8:9], s[4:5], 0x4
	s_load_dword s7, s[4:5], 0xc
	s_load_dwordx2 s[10:11], s[2:3], 0x0
	v_mov_b32_e32 v6, v1
	s_add_u32 s4, s4, 12
	s_waitcnt lgkmcnt(0)
	v_mul_hi_u32 v1, s9, v5
	v_add_u32_e32 v1, v5, v1
	v_lshrrev_b32_e32 v1, s7, v1
	s_addc_u32 s5, s5, 0
	v_mul_lo_u32 v3, v1, s8
	s_add_u32 s2, s2, 8
	v_sub_u32_e32 v3, v5, v3
	s_addc_u32 s3, s3, 0
	s_add_i32 s6, s6, -1
	v_mad_u64_u32 v[14:15], s[8:9], v3, s11, v[6:7]
	s_cmp_lg_u32 s6, 0
	v_mov_b32_e32 v5, v1
	v_mad_u64_u32 v[2:3], s[8:9], v3, s10, v[2:3]
	v_mov_b32_e32 v1, v14
	s_cbranch_scc1 .LBB7_42
.LBB7_43:
	s_cbranch_execnz .LBB7_46
.LBB7_44:
	s_load_dwordx4 s[4:7], s[34:35], 0x4
	s_load_dwordx2 s[2:3], s[34:35], 0xc4
	s_cmp_lt_u32 s33, 2
	s_waitcnt lgkmcnt(0)
	v_mul_hi_u32 v1, s5, v4
	v_add_u32_e32 v1, v4, v1
	v_lshrrev_b32_e32 v1, s6, v1
	v_mul_lo_u32 v2, v1, s4
	v_sub_u32_e32 v2, v4, v2
	v_mul_lo_u32 v14, v2, s3
	v_mul_lo_u32 v2, v2, s2
	s_cbranch_scc1 .LBB7_46
; %bb.45:
	s_load_dwordx4 s[4:7], s[34:35], 0x10
	s_load_dwordx2 s[2:3], s[34:35], 0xcc
	s_waitcnt lgkmcnt(0)
	v_mul_hi_u32 v3, s5, v1
	v_add_u32_e32 v3, v1, v3
	v_lshrrev_b32_e32 v3, s6, v3
	v_mul_lo_u32 v3, v3, s4
	v_sub_u32_e32 v1, v1, v3
	v_mad_u64_u32 v[2:3], s[4:5], v1, s2, v[2:3]
	v_mad_u64_u32 v[14:15], s[2:3], v1, s3, v[14:15]
.LBB7_46:
	s_and_b64 vcc, exec, s[0:1]
	v_add_u32_e32 v3, 0x100, v12
	s_cbranch_vccnz .LBB7_52
; %bb.47:
	s_cmp_lg_u32 s33, 0
	s_waitcnt lgkmcnt(0)
	s_mov_b32 s26, 0
	s_cbranch_scc0 .LBB7_53
; %bb.48:
	s_min_u32 s27, s54, 15
	s_add_i32 s27, s27, 1
	s_cmp_eq_u32 s54, 2
	s_cbranch_scc1 .LBB7_54
; %bb.49:
	s_and_b32 s26, s27, 28
	s_add_u32 s2, s34, 0xc4
	s_addc_u32 s3, s35, 0
	s_mov_b32 s28, 0
	v_mov_b32_e32 v4, 0
	v_mov_b32_e32 v12, 0
	s_mov_b64 s[24:25], s[34:35]
	v_mov_b32_e32 v6, v3
.LBB7_50:                               ; =>This Inner Loop Header: Depth=1
	s_load_dwordx8 s[12:19], s[24:25], 0x4
	s_load_dwordx4 s[20:23], s[24:25], 0x24
	s_load_dwordx8 s[4:11], s[2:3], 0x0
	s_add_u32 s24, s24, 48
	s_addc_u32 s25, s25, 0
	s_waitcnt lgkmcnt(0)
	v_mul_hi_u32 v1, s13, v6
	v_add_u32_e32 v1, v6, v1
	v_lshrrev_b32_e32 v1, s14, v1
	v_mul_lo_u32 v5, v1, s12
	v_mul_hi_u32 v7, s16, v1
	v_sub_u32_e32 v5, v6, v5
	v_add_u32_e32 v6, v1, v7
	v_lshrrev_b32_e32 v6, s17, v6
	v_mul_lo_u32 v8, v6, s15
	v_mul_hi_u32 v9, s19, v6
	v_sub_u32_e32 v1, v1, v8
	v_add_u32_e32 v8, v6, v9
	v_mul_lo_u32 v7, v5, s5
	v_mul_lo_u32 v5, v5, s4
	;; [unrolled: 1-line block ×4, first 2 shown]
	v_lshrrev_b32_e32 v8, s20, v8
	v_add3_u32 v1, v5, v4, v1
	v_add3_u32 v4, v7, v12, v9
	v_mul_lo_u32 v5, v8, s18
	v_mul_hi_u32 v7, s22, v8
	v_sub_u32_e32 v5, v6, v5
	v_add_u32_e32 v6, v8, v7
	v_lshrrev_b32_e32 v6, s23, v6
	s_add_i32 s28, s28, 4
	v_mul_lo_u32 v9, v6, s21
	s_add_u32 s2, s2, 32
	v_sub_u32_e32 v8, v8, v9
	s_addc_u32 s3, s3, 0
	v_mul_lo_u32 v7, v5, s8
	v_mul_lo_u32 v5, v5, s9
	;; [unrolled: 1-line block ×4, first 2 shown]
	s_cmp_lg_u32 s26, s28
	v_add3_u32 v12, v5, v4, v8
	v_add3_u32 v4, v7, v1, v9
	s_cbranch_scc1 .LBB7_50
; %bb.51:
	v_mov_b32_e32 v1, v12
	s_and_b32 s6, s27, 3
	s_cmp_eq_u32 s6, 0
	s_cbranch_scc0 .LBB7_55
	s_branch .LBB7_57
.LBB7_52:
                                        ; implicit-def: $vgpr12
                                        ; implicit-def: $vgpr4
	s_branch .LBB7_58
.LBB7_53:
	v_mov_b32_e32 v12, 0
	v_mov_b32_e32 v4, 0
	s_branch .LBB7_57
.LBB7_54:
	v_mov_b32_e32 v4, 0
                                        ; implicit-def: $vgpr12
	v_mov_b32_e32 v1, v4
	v_mov_b32_e32 v6, v3
	s_and_b32 s6, s27, 3
	s_cmp_eq_u32 s6, 0
	s_cbranch_scc1 .LBB7_57
.LBB7_55:
	s_lshl_b32 s2, s26, 3
	s_add_u32 s2, s34, s2
	s_addc_u32 s3, s35, 0
	s_add_u32 s2, s2, 0xc4
	s_addc_u32 s3, s3, 0
	s_mul_i32 s4, s26, 12
	s_add_u32 s4, s34, s4
	s_addc_u32 s5, s35, 0
.LBB7_56:                               ; =>This Inner Loop Header: Depth=1
	s_load_dwordx2 s[8:9], s[4:5], 0x4
	s_load_dword s7, s[4:5], 0xc
	s_load_dwordx2 s[10:11], s[2:3], 0x0
	v_mov_b32_e32 v8, v1
	s_add_u32 s4, s4, 12
	s_waitcnt lgkmcnt(0)
	v_mul_hi_u32 v1, s9, v6
	v_add_u32_e32 v1, v6, v1
	v_lshrrev_b32_e32 v1, s7, v1
	s_addc_u32 s5, s5, 0
	v_mul_lo_u32 v5, v1, s8
	s_add_u32 s2, s2, 8
	v_sub_u32_e32 v5, v6, v5
	s_addc_u32 s3, s3, 0
	s_add_i32 s6, s6, -1
	v_mad_u64_u32 v[12:13], s[8:9], v5, s11, v[8:9]
	s_cmp_lg_u32 s6, 0
	v_mov_b32_e32 v6, v1
	v_mad_u64_u32 v[4:5], s[8:9], v5, s10, v[4:5]
	v_mov_b32_e32 v1, v12
	s_cbranch_scc1 .LBB7_56
.LBB7_57:
	s_cbranch_execnz .LBB7_60
.LBB7_58:
	s_load_dwordx4 s[4:7], s[34:35], 0x4
	s_load_dwordx2 s[2:3], s[34:35], 0xc4
	s_cmp_lt_u32 s33, 2
	s_waitcnt lgkmcnt(0)
	v_mul_hi_u32 v1, s5, v3
	v_add_u32_e32 v1, v3, v1
	v_lshrrev_b32_e32 v1, s6, v1
	v_mul_lo_u32 v4, v1, s4
	v_sub_u32_e32 v3, v3, v4
	v_mul_lo_u32 v12, v3, s3
	v_mul_lo_u32 v4, v3, s2
	s_cbranch_scc1 .LBB7_60
; %bb.59:
	s_load_dwordx4 s[4:7], s[34:35], 0x10
	s_load_dwordx2 s[2:3], s[34:35], 0xcc
	s_waitcnt lgkmcnt(0)
	v_mul_hi_u32 v3, s5, v1
	v_add_u32_e32 v3, v1, v3
	v_lshrrev_b32_e32 v3, s6, v3
	v_mul_lo_u32 v3, v3, s4
	v_sub_u32_e32 v1, v1, v3
	v_mad_u64_u32 v[4:5], s[4:5], v1, s2, v[4:5]
	v_mad_u64_u32 v[12:13], s[2:3], v1, s3, v[12:13]
.LBB7_60:
	s_and_b64 vcc, exec, s[0:1]
	s_cbranch_vccnz .LBB7_66
; %bb.61:
	s_cmp_lg_u32 s33, 0
	s_waitcnt lgkmcnt(0)
	s_mov_b32 s24, 0
	s_cbranch_scc0 .LBB7_67
; %bb.62:
	s_min_u32 s25, s54, 15
	s_add_i32 s25, s25, 1
	s_cmp_eq_u32 s54, 2
	s_cbranch_scc1 .LBB7_68
; %bb.63:
	s_and_b32 s24, s25, 28
	s_add_u32 s20, s34, 0xc4
	s_addc_u32 s21, s35, 0
	s_mov_b32 s26, 0
	v_mov_b32_e32 v6, 0
	v_mov_b32_e32 v8, 0
	s_mov_b64 s[22:23], s[34:35]
	v_mov_b32_e32 v3, v16
.LBB7_64:                               ; =>This Inner Loop Header: Depth=1
	s_load_dwordx8 s[8:15], s[22:23], 0x4
	s_load_dwordx4 s[16:19], s[22:23], 0x24
	s_load_dwordx8 s[0:7], s[20:21], 0x0
	s_add_u32 s22, s22, 48
	s_addc_u32 s23, s23, 0
	s_waitcnt lgkmcnt(0)
	v_mul_hi_u32 v1, s9, v3
	v_add_u32_e32 v1, v3, v1
	v_lshrrev_b32_e32 v1, s10, v1
	v_mul_lo_u32 v5, v1, s8
	v_mul_hi_u32 v7, s12, v1
	v_sub_u32_e32 v3, v3, v5
	v_add_u32_e32 v5, v1, v7
	v_lshrrev_b32_e32 v5, s13, v5
	v_mul_lo_u32 v9, v5, s11
	v_mul_hi_u32 v11, s15, v5
	v_sub_u32_e32 v1, v1, v9
	v_add_u32_e32 v9, v5, v11
	v_mul_lo_u32 v7, v3, s1
	v_mul_lo_u32 v3, v3, s0
	;; [unrolled: 1-line block ×4, first 2 shown]
	v_lshrrev_b32_e32 v9, s16, v9
	v_add3_u32 v1, v3, v6, v1
	v_add3_u32 v6, v7, v8, v11
	v_mul_lo_u32 v3, v9, s14
	v_mul_hi_u32 v7, s18, v9
	v_sub_u32_e32 v3, v5, v3
	v_add_u32_e32 v5, v9, v7
	v_mul_lo_u32 v7, v3, s4
	v_mul_lo_u32 v8, v3, s5
	v_lshrrev_b32_e32 v3, s19, v5
	s_add_i32 s26, s26, 4
	v_mul_lo_u32 v5, v3, s17
	s_add_u32 s20, s20, 32
	v_sub_u32_e32 v5, v9, v5
	s_addc_u32 s21, s21, 0
	v_mul_lo_u32 v9, v5, s6
	v_mul_lo_u32 v5, v5, s7
	s_cmp_lg_u32 s24, s26
	v_add3_u32 v8, v8, v6, v5
	v_add3_u32 v6, v7, v1, v9
	s_cbranch_scc1 .LBB7_64
; %bb.65:
	v_mov_b32_e32 v1, v8
	s_and_b32 s4, s25, 3
	s_cmp_eq_u32 s4, 0
	s_cbranch_scc0 .LBB7_69
	s_branch .LBB7_71
.LBB7_66:
                                        ; implicit-def: $vgpr8
                                        ; implicit-def: $vgpr6
	s_branch .LBB7_72
.LBB7_67:
	v_mov_b32_e32 v8, 0
	v_mov_b32_e32 v6, 0
	s_branch .LBB7_71
.LBB7_68:
	v_mov_b32_e32 v6, 0
                                        ; implicit-def: $vgpr8
	v_mov_b32_e32 v1, v6
	v_mov_b32_e32 v3, v16
	s_and_b32 s4, s25, 3
	s_cmp_eq_u32 s4, 0
	s_cbranch_scc1 .LBB7_71
.LBB7_69:
	s_lshl_b32 s0, s24, 3
	s_add_u32 s0, s34, s0
	s_addc_u32 s1, s35, 0
	s_add_u32 s0, s0, 0xc4
	s_addc_u32 s1, s1, 0
	s_mul_i32 s2, s24, 12
	s_add_u32 s2, s34, s2
	s_addc_u32 s3, s35, 0
.LBB7_70:                               ; =>This Inner Loop Header: Depth=1
	s_load_dwordx2 s[6:7], s[2:3], 0x4
	s_load_dword s5, s[2:3], 0xc
	s_load_dwordx2 s[8:9], s[0:1], 0x0
	v_mov_b32_e32 v8, v1
	s_add_u32 s2, s2, 12
	s_waitcnt lgkmcnt(0)
	v_mul_hi_u32 v1, s7, v3
	v_add_u32_e32 v1, v3, v1
	v_lshrrev_b32_e32 v1, s5, v1
	s_addc_u32 s3, s3, 0
	v_mul_lo_u32 v5, v1, s6
	s_add_u32 s0, s0, 8
	v_sub_u32_e32 v5, v3, v5
	s_addc_u32 s1, s1, 0
	s_add_i32 s4, s4, -1
	v_mad_u64_u32 v[8:9], s[6:7], v5, s9, v[8:9]
	s_cmp_lg_u32 s4, 0
	v_mov_b32_e32 v3, v1
	v_mad_u64_u32 v[6:7], s[6:7], v5, s8, v[6:7]
	v_mov_b32_e32 v1, v8
	s_cbranch_scc1 .LBB7_70
.LBB7_71:
	s_cbranch_execnz .LBB7_74
.LBB7_72:
	s_load_dwordx4 s[0:3], s[34:35], 0x4
	s_load_dwordx2 s[4:5], s[34:35], 0xc4
	s_cmp_lt_u32 s33, 2
	s_waitcnt lgkmcnt(0)
	v_mul_hi_u32 v1, s1, v16
	v_add_u32_e32 v1, v16, v1
	v_lshrrev_b32_e32 v1, s2, v1
	v_mul_lo_u32 v3, v1, s0
	v_sub_u32_e32 v3, v16, v3
	v_mul_lo_u32 v8, v3, s5
	v_mul_lo_u32 v6, v3, s4
	s_cbranch_scc1 .LBB7_74
; %bb.73:
	s_load_dwordx4 s[0:3], s[34:35], 0x10
	s_load_dwordx2 s[4:5], s[34:35], 0xcc
	s_waitcnt lgkmcnt(0)
	v_mul_hi_u32 v3, s1, v1
	v_add_u32_e32 v3, v1, v3
	v_lshrrev_b32_e32 v3, s2, v3
	v_mul_lo_u32 v3, v3, s0
	v_sub_u32_e32 v1, v1, v3
	v_mad_u64_u32 v[6:7], s[0:1], v1, s4, v[6:7]
	v_mad_u64_u32 v[8:9], s[0:1], v1, s5, v[8:9]
.LBB7_74:
	s_load_dwordx4 s[4:7], s[34:35], 0x148
	s_mov_b32 s0, 0
	s_mov_b32 s1, 0x40200000
	s_waitcnt lgkmcnt(0)
	global_load_dwordx2 v[16:17], v10, s[6:7]
                                        ; implicit-def: $vgpr10_vgpr11
	s_waitcnt vmcnt(0)
	v_cmp_le_f64_e64 s[0:1], |v[16:17]|, s[0:1]
	s_and_saveexec_b64 s[2:3], s[0:1]
	s_xor_b64 s[0:1], exec, s[2:3]
	s_cbranch_execz .LBB7_80
; %bb.75:
	s_mov_b32 s2, 0xc3c4014
	v_fma_f64 v[10:11], |v[16:17]|, 0.5, -2.0
	v_mov_b32_e32 v18, 0xc38a0576
	v_mov_b32_e32 v19, 0xbc7857d0
	s_mov_b32 s3, 0x3c499f2a
	v_fmac_f64_e32 v[18:19], s[2:3], v[10:11]
	v_mov_b32_e32 v20, 0xc3c4014
	v_mov_b32_e32 v21, 0xbc499f2a
	s_mov_b32 s2, 0xe593bfac
	v_fmac_f64_e32 v[20:21], v[10:11], v[18:19]
	s_mov_b32 s3, 0x3ca663e3
	v_add_f64 v[20:21], v[20:21], s[2:3]
	s_mov_b32 s2, 0x7e0d1573
	v_fma_f64 v[18:19], v[10:11], v[20:21], -v[18:19]
	s_mov_b32 s3, 0xbcd3eaaa
	v_add_f64 v[18:19], v[18:19], s[2:3]
	s_mov_b32 s2, 0x615290c
	v_fma_f64 v[20:21], v[10:11], v[18:19], -v[20:21]
	;; [unrolled: 4-line block ×26, first 2 shown]
	s_mov_b32 s3, 0x3fd02a63
	v_add_f64 v[10:11], v[10:11], s[2:3]
	v_add_f64 v[10:11], v[10:11], -v[20:21]
	s_mov_b32 s2, 0x652b82fe
	v_mul_f64 v[10:11], v[10:11], 0.5
	s_mov_b32 s3, 0x3ff71547
	v_mul_f64 v[18:19], |v[16:17]|, v[10:11]
	v_mul_f64 v[10:11], |v[16:17]|, s[2:3]
	s_mov_b32 s2, 0xfefa39ef
	v_rndne_f64_e32 v[10:11], v[10:11]
	s_mov_b32 s3, 0xbfe62e42
	v_fma_f64 v[20:21], v[10:11], s[2:3], |v[16:17]|
	s_mov_b32 s2, 0x3b39803f
	s_mov_b32 s3, 0xbc7abc9e
	v_fmac_f64_e32 v[20:21], s[2:3], v[10:11]
	s_mov_b32 s2, 0x6a5dcb37
	v_mov_b32_e32 v22, 0xfca7ab0c
	v_mov_b32_e32 v23, 0x3e928af3
	s_mov_b32 s3, 0x3e5ade15
	v_fmac_f64_e32 v[22:23], s[2:3], v[20:21]
	v_mov_b32_e32 v24, 0x623fde64
	v_mov_b32_e32 v25, 0x3ec71dee
	v_fmac_f64_e32 v[24:25], v[20:21], v[22:23]
	v_mov_b32_e32 v22, 0x7c89e6b0
	v_mov_b32_e32 v23, 0x3efa0199
	;; [unrolled: 3-line block ×8, first 2 shown]
	v_fmac_f64_e32 v[22:23], v[20:21], v[24:25]
	v_fma_f64 v[22:23], v[20:21], v[22:23], 1.0
	v_cmp_ngt_f64_e32 vcc, 0, v[16:17]
	v_fma_f64 v[20:21], v[20:21], v[22:23], 1.0
	v_cvt_i32_f64_e32 v1, v[10:11]
                                        ; implicit-def: $vgpr10_vgpr11
	s_and_saveexec_b64 s[2:3], vcc
	s_xor_b64 s[2:3], exec, s[2:3]
; %bb.76:
	s_mov_b32 s8, 0
	s_mov_b32 s9, 0x40900000
	v_ldexp_f64 v[10:11], v[20:21], v1
	v_mov_b32_e32 v1, 0x7ff00000
	v_cmp_ngt_f64_e64 vcc, |v[16:17]|, s[8:9]
                                        ; implicit-def: $vgpr20_vgpr21
                                        ; implicit-def: $vgpr16_vgpr17
	s_nop 1
	v_cndmask_b32_e32 v11, v1, v11, vcc
	v_cndmask_b32_e32 v10, 0, v10, vcc
	v_mul_f64 v[10:11], v[10:11], v[18:19]
                                        ; implicit-def: $vgpr1
                                        ; implicit-def: $vgpr18_vgpr19
; %bb.77:
	s_andn2_saveexec_b64 s[2:3], s[2:3]
; %bb.78:
	s_mov_b32 s8, 0
	s_mov_b32 s9, 0x40900000
	v_ldexp_f64 v[10:11], -v[20:21], v1
	v_mov_b32_e32 v1, 0xfff00000
	v_cmp_ngt_f64_e64 vcc, |v[16:17]|, s[8:9]
	s_nop 1
	v_cndmask_b32_e32 v11, v1, v11, vcc
	v_cndmask_b32_e32 v10, 0, v10, vcc
	v_mul_f64 v[10:11], v[10:11], v[18:19]
; %bb.79:
	s_or_b64 exec, exec, s[2:3]
                                        ; implicit-def: $vgpr16_vgpr17
.LBB7_80:
	s_andn2_saveexec_b64 s[2:3], s[0:1]
	s_cbranch_execz .LBB7_86
; %bb.81:
	s_mov_b32 s0, 0
	v_and_b32_e32 v11, 0x7fffffff, v17
	v_mov_b32_e32 v10, v16
	s_mov_b32 s1, 0x40400000
	v_div_scale_f64 v[18:19], s[8:9], v[10:11], v[10:11], s[0:1]
	v_rcp_f64_e32 v[20:21], v[18:19]
	v_div_scale_f64 v[10:11], vcc, s[0:1], v[10:11], s[0:1]
	v_mov_b32_e32 v24, 0xfca7ab0c
	v_fma_f64 v[22:23], -v[18:19], v[20:21], 1.0
	v_fmac_f64_e32 v[20:21], v[20:21], v[22:23]
	v_fma_f64 v[22:23], -v[18:19], v[20:21], 1.0
	v_fmac_f64_e32 v[20:21], v[20:21], v[22:23]
	v_mul_f64 v[22:23], v[10:11], v[20:21]
	v_fma_f64 v[10:11], -v[18:19], v[22:23], v[10:11]
	v_div_fmas_f64 v[10:11], v[10:11], v[20:21], v[22:23]
	v_div_fixup_f64 v[10:11], v[10:11], |v[16:17]|, s[0:1]
	s_mov_b32 s0, 0xb352e8e6
	v_add_f64 v[10:11], v[10:11], -2.0
	v_mov_b32_e32 v18, 0xea87b950
	v_mov_b32_e32 v19, 0x3c545b8a
	s_mov_b32 s1, 0x3c61556d
	v_fmac_f64_e32 v[18:19], s[0:1], v[10:11]
	v_mov_b32_e32 v20, 0xb352e8e6
	v_mov_b32_e32 v21, 0xbc61556d
	s_mov_b32 s0, 0xb2532277
	v_fmac_f64_e32 v[20:21], v[10:11], v[18:19]
	s_mov_b32 s1, 0xbc8acea3
	v_add_f64 v[20:21], v[20:21], s[0:1]
	s_mov_b32 s0, 0x9c773320
	v_fma_f64 v[18:19], v[10:11], v[20:21], -v[18:19]
	s_mov_b32 s1, 0xbc82806c
	v_add_f64 v[18:19], v[18:19], s[0:1]
	s_mov_b32 s0, 0xfceb588a
	v_fma_f64 v[20:21], v[10:11], v[18:19], -v[20:21]
	s_mov_b32 s1, 0x3cb55915
	v_add_f64 v[20:21], v[20:21], s[0:1]
	s_mov_b32 s0, 0x5f04a2d1
	v_fma_f64 v[18:19], v[10:11], v[20:21], -v[18:19]
	s_mov_b32 s1, 0x3cb7d68e
	v_add_f64 v[18:19], v[18:19], s[0:1]
	s_mov_b32 s0, 0x8bc4d22a
	v_fma_f64 v[20:21], v[10:11], v[18:19], -v[20:21]
	s_mov_b32 s1, 0xbce0efcd
	v_add_f64 v[20:21], v[20:21], s[0:1]
	s_mov_b32 s0, 0x138afbc7
	v_fma_f64 v[18:19], v[10:11], v[20:21], -v[18:19]
	s_mov_b32 s1, 0xbcf12db5
	v_add_f64 v[18:19], v[18:19], s[0:1]
	s_mov_b32 s0, 0x762d31e8
	v_fma_f64 v[20:21], v[10:11], v[18:19], -v[20:21]
	s_mov_b32 s1, 0x3d0776e1
	v_add_f64 v[20:21], v[20:21], s[0:1]
	s_mov_b32 s0, 0x26b3281e
	v_fma_f64 v[18:19], v[10:11], v[20:21], -v[18:19]
	s_mov_b32 s1, 0x3d280d3c
	v_add_f64 v[18:19], v[18:19], s[0:1]
	s_mov_b32 s0, 0x2e6d22a0
	v_fma_f64 v[20:21], v[10:11], v[18:19], -v[20:21]
	s_mov_b32 s1, 0xbd17a948
	v_add_f64 v[20:21], v[20:21], s[0:1]
	s_mov_b32 s0, 0x8e73e255
	v_fma_f64 v[18:19], v[10:11], v[20:21], -v[18:19]
	s_mov_b32 s1, 0xbd5cbc45
	v_add_f64 v[18:19], v[18:19], s[0:1]
	s_mov_b32 s0, 0x76ab493
	v_fma_f64 v[20:21], v[10:11], v[18:19], -v[20:21]
	s_mov_b32 s1, 0xbd6953e1
	v_add_f64 v[20:21], v[20:21], s[0:1]
	s_mov_b32 s0, 0xf6439fa3
	v_fma_f64 v[18:19], v[10:11], v[20:21], -v[18:19]
	s_mov_b32 s1, 0x3d81e7d3
	v_add_f64 v[18:19], v[18:19], s[0:1]
	s_mov_b32 s0, 0x653c457b
	v_fma_f64 v[20:21], v[10:11], v[18:19], -v[20:21]
	s_mov_b32 s1, 0x3daf101f
	v_add_f64 v[20:21], v[20:21], s[0:1]
	s_mov_b32 s0, 0xf1587865
	v_fma_f64 v[18:19], v[10:11], v[20:21], -v[18:19]
	s_mov_b32 s1, 0x3dc1e1a1
	v_add_f64 v[18:19], v[18:19], s[0:1]
	s_mov_b32 s0, 0xd4504c0c
	v_fma_f64 v[20:21], v[10:11], v[18:19], -v[20:21]
	s_mov_b32 s1, 0xbdb4dcf9
	v_add_f64 v[20:21], v[20:21], s[0:1]
	s_mov_b32 s0, 0x5423dd80
	v_fma_f64 v[18:19], v[10:11], v[20:21], -v[18:19]
	s_mov_b32 s1, 0xbe0334ca
	v_add_f64 v[18:19], v[18:19], s[0:1]
	s_mov_b32 s0, 0x9ad53528
	v_fma_f64 v[20:21], v[10:11], v[18:19], -v[20:21]
	s_mov_b32 s1, 0xbe30790b
	v_add_f64 v[20:21], v[20:21], s[0:1]
	s_mov_b32 s0, 0x94bb46c1
	v_fma_f64 v[18:19], v[10:11], v[20:21], -v[18:19]
	s_mov_b32 s1, 0xbe5c4153
	v_add_f64 v[18:19], v[18:19], s[0:1]
	s_mov_b32 s0, 0x2e9e5443
	v_fma_f64 v[20:21], v[10:11], v[18:19], -v[20:21]
	s_mov_b32 s1, 0xbe90dbfd
	v_add_f64 v[20:21], v[20:21], s[0:1]
	s_mov_b32 s0, 0x49ca0373
	v_fma_f64 v[18:19], v[10:11], v[20:21], -v[18:19]
	s_mov_b32 s1, 0xbed048df
	v_add_f64 v[18:19], v[18:19], s[0:1]
	s_mov_b32 s0, 0x804aa9a6
	v_fma_f64 v[20:21], v[10:11], v[18:19], -v[20:21]
	s_mov_b32 s1, 0xbf1cfd7f
	v_add_f64 v[20:21], v[20:21], s[0:1]
	s_mov_b32 s0, 0x53fcdb4c
	v_fma_f64 v[18:19], v[10:11], v[20:21], -v[18:19]
	s_mov_b32 s1, 0xbf83fda0
	v_add_f64 v[18:19], v[18:19], s[0:1]
	s_mov_b32 s0, 0xb55b1514
	v_fma_f64 v[10:11], v[10:11], v[18:19], -v[20:21]
	s_mov_b32 s1, 0x3fe8ea18
	v_add_f64 v[10:11], v[10:11], s[0:1]
	s_mov_b32 s0, 0x652b82fe
	s_mov_b32 s1, 0x3ff71547
	v_mul_f64 v[18:19], |v[16:17]|, s[0:1]
	s_mov_b32 s0, 0xfefa39ef
	v_rndne_f64_e32 v[18:19], v[18:19]
	s_mov_b32 s1, 0xbfe62e42
	v_fma_f64 v[22:23], v[18:19], s[0:1], |v[16:17]|
	s_mov_b32 s0, 0x3b39803f
	s_mov_b32 s1, 0xbc7abc9e
	v_fmac_f64_e32 v[22:23], s[0:1], v[18:19]
	s_mov_b32 s0, 0x6a5dcb37
	v_mov_b32_e32 v25, 0x3e928af3
	s_mov_b32 s1, 0x3e5ade15
	v_fmac_f64_e32 v[24:25], s[0:1], v[22:23]
	v_mov_b32_e32 v26, 0x623fde64
	v_mov_b32_e32 v27, 0x3ec71dee
	v_fmac_f64_e32 v[26:27], v[22:23], v[24:25]
	v_mov_b32_e32 v24, 0x7c89e6b0
	v_mov_b32_e32 v25, 0x3efa0199
	;; [unrolled: 3-line block ×8, first 2 shown]
	v_fmac_f64_e32 v[24:25], v[22:23], v[26:27]
	v_fma_f64 v[24:25], v[22:23], v[24:25], 1.0
	s_mov_b32 s0, 0
	v_fma_f64 v[22:23], v[22:23], v[24:25], 1.0
	v_cvt_i32_f64_e32 v1, v[18:19]
	s_mov_b32 s1, 0x40900000
	v_ldexp_f64 v[18:19], v[22:23], v1
	v_mov_b32_e32 v1, 0x7ff00000
	v_cmp_ngt_f64_e64 s[0:1], |v[16:17]|, s[0:1]
	v_cmp_ngt_f64_e32 vcc, 0, v[16:17]
	v_add_f64 v[20:21], v[10:11], -v[20:21]
	v_cndmask_b32_e64 v19, v1, v19, s[0:1]
	v_cndmask_b32_e64 v18, 0, v18, s[0:1]
                                        ; implicit-def: $vgpr10_vgpr11
	s_and_saveexec_b64 s[0:1], vcc
	s_xor_b64 s[0:1], exec, s[0:1]
	s_cbranch_execz .LBB7_83
; %bb.82:
	s_mov_b32 s8, 0
	s_brev_b32 s9, 8
	v_mov_b32_e32 v1, 0x100
	v_cmp_lt_f64_e64 vcc, |v[16:17]|, s[8:9]
	v_mul_f64 v[20:21], v[20:21], 0.5
	v_mul_f64 v[18:19], v[18:19], v[20:21]
	v_cndmask_b32_e32 v1, 0, v1, vcc
	v_ldexp_f64 v[10:11], |v[16:17]|, v1
	v_rsq_f64_e32 v[16:17], v[10:11]
	v_mov_b32_e32 v1, 0xffffff80
	v_cndmask_b32_e32 v1, 0, v1, vcc
	v_mul_f64 v[20:21], v[10:11], v[16:17]
	v_mul_f64 v[16:17], v[16:17], 0.5
	v_fma_f64 v[22:23], -v[16:17], v[20:21], 0.5
	v_fmac_f64_e32 v[20:21], v[20:21], v[22:23]
	v_fma_f64 v[24:25], -v[20:21], v[20:21], v[10:11]
	v_fmac_f64_e32 v[16:17], v[16:17], v[22:23]
	v_fmac_f64_e32 v[20:21], v[24:25], v[16:17]
	v_fma_f64 v[22:23], -v[20:21], v[20:21], v[10:11]
	v_fmac_f64_e32 v[20:21], v[22:23], v[16:17]
	v_ldexp_f64 v[16:17], v[20:21], v1
	v_mov_b32_e32 v1, 0x260
	v_cmp_class_f64_e32 vcc, v[10:11], v1
	s_nop 1
	v_cndmask_b32_e32 v11, v17, v11, vcc
	v_cndmask_b32_e32 v10, v16, v10, vcc
	v_div_scale_f64 v[16:17], s[8:9], v[10:11], v[10:11], v[18:19]
	v_rcp_f64_e32 v[20:21], v[16:17]
	s_nop 0
	v_fma_f64 v[22:23], -v[16:17], v[20:21], 1.0
	v_fmac_f64_e32 v[20:21], v[20:21], v[22:23]
	v_fma_f64 v[22:23], -v[16:17], v[20:21], 1.0
	v_fmac_f64_e32 v[20:21], v[20:21], v[22:23]
	v_div_scale_f64 v[22:23], vcc, v[18:19], v[10:11], v[18:19]
	v_mul_f64 v[24:25], v[22:23], v[20:21]
	v_fma_f64 v[16:17], -v[16:17], v[24:25], v[22:23]
	s_nop 1
	v_div_fmas_f64 v[16:17], v[16:17], v[20:21], v[24:25]
	v_div_fixup_f64 v[10:11], v[16:17], v[10:11], v[18:19]
                                        ; implicit-def: $vgpr16_vgpr17
                                        ; implicit-def: $vgpr20_vgpr21
                                        ; implicit-def: $vgpr18_vgpr19
.LBB7_83:
	s_andn2_saveexec_b64 s[0:1], s[0:1]
	s_cbranch_execz .LBB7_85
; %bb.84:
	s_mov_b32 s8, 0
	s_brev_b32 s9, 8
	v_mov_b32_e32 v1, 0x100
	v_cmp_lt_f64_e64 vcc, |v[16:17]|, s[8:9]
	s_nop 1
	v_cndmask_b32_e32 v1, 0, v1, vcc
	v_ldexp_f64 v[10:11], |v[16:17]|, v1
	v_rsq_f64_e32 v[16:17], v[10:11]
	v_mov_b32_e32 v1, 0xffffff80
	v_cndmask_b32_e32 v1, 0, v1, vcc
	v_mul_f64 v[22:23], v[10:11], v[16:17]
	v_mul_f64 v[16:17], v[16:17], 0.5
	v_fma_f64 v[24:25], -v[16:17], v[22:23], 0.5
	v_fmac_f64_e32 v[22:23], v[22:23], v[24:25]
	v_fma_f64 v[26:27], -v[22:23], v[22:23], v[10:11]
	v_fmac_f64_e32 v[16:17], v[16:17], v[24:25]
	v_fmac_f64_e32 v[22:23], v[26:27], v[16:17]
	v_fma_f64 v[24:25], -v[22:23], v[22:23], v[10:11]
	v_fmac_f64_e32 v[22:23], v[24:25], v[16:17]
	v_ldexp_f64 v[16:17], v[22:23], v1
	v_mov_b32_e32 v1, 0x260
	v_cmp_class_f64_e32 vcc, v[10:11], v1
	s_nop 1
	v_cndmask_b32_e32 v11, v17, v11, vcc
	v_cndmask_b32_e32 v10, v16, v10, vcc
	v_mul_f64 v[16:17], v[20:21], -0.5
	v_mul_f64 v[16:17], v[18:19], v[16:17]
	v_div_scale_f64 v[18:19], s[8:9], v[10:11], v[10:11], v[16:17]
	v_rcp_f64_e32 v[20:21], v[18:19]
	s_nop 0
	v_fma_f64 v[22:23], -v[18:19], v[20:21], 1.0
	v_fmac_f64_e32 v[20:21], v[20:21], v[22:23]
	v_fma_f64 v[22:23], -v[18:19], v[20:21], 1.0
	v_fmac_f64_e32 v[20:21], v[20:21], v[22:23]
	v_div_scale_f64 v[22:23], vcc, v[16:17], v[10:11], v[16:17]
	v_mul_f64 v[24:25], v[22:23], v[20:21]
	v_fma_f64 v[18:19], -v[18:19], v[24:25], v[22:23]
	s_nop 1
	v_div_fmas_f64 v[18:19], v[18:19], v[20:21], v[24:25]
	v_div_fixup_f64 v[10:11], v[18:19], v[10:11], v[16:17]
.LBB7_85:
	s_or_b64 exec, exec, s[0:1]
.LBB7_86:
	s_or_b64 exec, exec, s[2:3]
	global_load_dwordx2 v[16:17], v14, s[6:7]
	s_mov_b32 s0, 0
	s_mov_b32 s1, 0x40200000
                                        ; implicit-def: $vgpr14_vgpr15
	s_waitcnt vmcnt(0)
	v_cmp_le_f64_e64 s[0:1], |v[16:17]|, s[0:1]
	s_and_saveexec_b64 s[2:3], s[0:1]
	s_xor_b64 s[0:1], exec, s[2:3]
	s_cbranch_execz .LBB7_92
; %bb.87:
	s_mov_b32 s2, 0xc3c4014
	v_fma_f64 v[14:15], |v[16:17]|, 0.5, -2.0
	v_mov_b32_e32 v18, 0xc38a0576
	v_mov_b32_e32 v19, 0xbc7857d0
	s_mov_b32 s3, 0x3c499f2a
	v_fmac_f64_e32 v[18:19], s[2:3], v[14:15]
	v_mov_b32_e32 v20, 0xc3c4014
	v_mov_b32_e32 v21, 0xbc499f2a
	s_mov_b32 s2, 0xe593bfac
	v_fmac_f64_e32 v[20:21], v[14:15], v[18:19]
	s_mov_b32 s3, 0x3ca663e3
	v_add_f64 v[20:21], v[20:21], s[2:3]
	s_mov_b32 s2, 0x7e0d1573
	v_fma_f64 v[18:19], v[14:15], v[20:21], -v[18:19]
	s_mov_b32 s3, 0xbcd3eaaa
	v_add_f64 v[18:19], v[18:19], s[2:3]
	s_mov_b32 s2, 0x615290c
	v_fma_f64 v[20:21], v[14:15], v[18:19], -v[20:21]
	;; [unrolled: 4-line block ×26, first 2 shown]
	s_mov_b32 s3, 0x3fd02a63
	v_add_f64 v[14:15], v[14:15], s[2:3]
	v_add_f64 v[14:15], v[14:15], -v[20:21]
	s_mov_b32 s2, 0x652b82fe
	v_mul_f64 v[14:15], v[14:15], 0.5
	s_mov_b32 s3, 0x3ff71547
	v_mul_f64 v[18:19], |v[16:17]|, v[14:15]
	v_mul_f64 v[14:15], |v[16:17]|, s[2:3]
	s_mov_b32 s2, 0xfefa39ef
	v_rndne_f64_e32 v[14:15], v[14:15]
	s_mov_b32 s3, 0xbfe62e42
	v_fma_f64 v[20:21], v[14:15], s[2:3], |v[16:17]|
	s_mov_b32 s2, 0x3b39803f
	s_mov_b32 s3, 0xbc7abc9e
	v_fmac_f64_e32 v[20:21], s[2:3], v[14:15]
	s_mov_b32 s2, 0x6a5dcb37
	v_mov_b32_e32 v22, 0xfca7ab0c
	v_mov_b32_e32 v23, 0x3e928af3
	s_mov_b32 s3, 0x3e5ade15
	v_fmac_f64_e32 v[22:23], s[2:3], v[20:21]
	v_mov_b32_e32 v24, 0x623fde64
	v_mov_b32_e32 v25, 0x3ec71dee
	v_fmac_f64_e32 v[24:25], v[20:21], v[22:23]
	v_mov_b32_e32 v22, 0x7c89e6b0
	v_mov_b32_e32 v23, 0x3efa0199
	v_fmac_f64_e32 v[22:23], v[20:21], v[24:25]
	v_mov_b32_e32 v24, 0x14761f6e
	v_mov_b32_e32 v25, 0x3f2a01a0
	v_fmac_f64_e32 v[24:25], v[20:21], v[22:23]
	v_mov_b32_e32 v22, 0x1852b7b0
	v_mov_b32_e32 v23, 0x3f56c16c
	v_fmac_f64_e32 v[22:23], v[20:21], v[24:25]
	v_mov_b32_e32 v24, 0x11122322
	v_mov_b32_e32 v25, 0x3f811111
	v_fmac_f64_e32 v[24:25], v[20:21], v[22:23]
	v_mov_b32_e32 v22, 0x555502a1
	v_mov_b32_e32 v23, 0x3fa55555
	v_fmac_f64_e32 v[22:23], v[20:21], v[24:25]
	v_mov_b32_e32 v24, 0x55555511
	v_mov_b32_e32 v25, 0x3fc55555
	v_fmac_f64_e32 v[24:25], v[20:21], v[22:23]
	v_mov_b32_e32 v22, 11
	v_mov_b32_e32 v23, 0x3fe00000
	v_fmac_f64_e32 v[22:23], v[20:21], v[24:25]
	v_fma_f64 v[22:23], v[20:21], v[22:23], 1.0
	v_cmp_ngt_f64_e32 vcc, 0, v[16:17]
	v_fma_f64 v[20:21], v[20:21], v[22:23], 1.0
	v_cvt_i32_f64_e32 v1, v[14:15]
                                        ; implicit-def: $vgpr14_vgpr15
	s_and_saveexec_b64 s[2:3], vcc
	s_xor_b64 s[2:3], exec, s[2:3]
; %bb.88:
	s_mov_b32 s8, 0
	s_mov_b32 s9, 0x40900000
	v_ldexp_f64 v[14:15], v[20:21], v1
	v_mov_b32_e32 v1, 0x7ff00000
	v_cmp_ngt_f64_e64 vcc, |v[16:17]|, s[8:9]
                                        ; implicit-def: $vgpr20_vgpr21
                                        ; implicit-def: $vgpr16_vgpr17
	s_nop 1
	v_cndmask_b32_e32 v15, v1, v15, vcc
	v_cndmask_b32_e32 v14, 0, v14, vcc
	v_mul_f64 v[14:15], v[14:15], v[18:19]
                                        ; implicit-def: $vgpr1
                                        ; implicit-def: $vgpr18_vgpr19
; %bb.89:
	s_andn2_saveexec_b64 s[2:3], s[2:3]
; %bb.90:
	s_mov_b32 s8, 0
	s_mov_b32 s9, 0x40900000
	v_ldexp_f64 v[14:15], -v[20:21], v1
	v_mov_b32_e32 v1, 0xfff00000
	v_cmp_ngt_f64_e64 vcc, |v[16:17]|, s[8:9]
	s_nop 1
	v_cndmask_b32_e32 v15, v1, v15, vcc
	v_cndmask_b32_e32 v14, 0, v14, vcc
	v_mul_f64 v[14:15], v[14:15], v[18:19]
; %bb.91:
	s_or_b64 exec, exec, s[2:3]
                                        ; implicit-def: $vgpr16_vgpr17
.LBB7_92:
	s_andn2_saveexec_b64 s[2:3], s[0:1]
	s_cbranch_execz .LBB7_98
; %bb.93:
	s_mov_b32 s0, 0
	v_and_b32_e32 v15, 0x7fffffff, v17
	v_mov_b32_e32 v14, v16
	s_mov_b32 s1, 0x40400000
	v_div_scale_f64 v[18:19], s[8:9], v[14:15], v[14:15], s[0:1]
	v_rcp_f64_e32 v[20:21], v[18:19]
	v_div_scale_f64 v[14:15], vcc, s[0:1], v[14:15], s[0:1]
	v_mov_b32_e32 v24, 0xfca7ab0c
	v_fma_f64 v[22:23], -v[18:19], v[20:21], 1.0
	v_fmac_f64_e32 v[20:21], v[20:21], v[22:23]
	v_fma_f64 v[22:23], -v[18:19], v[20:21], 1.0
	v_fmac_f64_e32 v[20:21], v[20:21], v[22:23]
	v_mul_f64 v[22:23], v[14:15], v[20:21]
	v_fma_f64 v[14:15], -v[18:19], v[22:23], v[14:15]
	v_div_fmas_f64 v[14:15], v[14:15], v[20:21], v[22:23]
	v_div_fixup_f64 v[14:15], v[14:15], |v[16:17]|, s[0:1]
	s_mov_b32 s0, 0xb352e8e6
	v_add_f64 v[14:15], v[14:15], -2.0
	v_mov_b32_e32 v18, 0xea87b950
	v_mov_b32_e32 v19, 0x3c545b8a
	s_mov_b32 s1, 0x3c61556d
	v_fmac_f64_e32 v[18:19], s[0:1], v[14:15]
	v_mov_b32_e32 v20, 0xb352e8e6
	v_mov_b32_e32 v21, 0xbc61556d
	s_mov_b32 s0, 0xb2532277
	v_fmac_f64_e32 v[20:21], v[14:15], v[18:19]
	s_mov_b32 s1, 0xbc8acea3
	v_add_f64 v[20:21], v[20:21], s[0:1]
	s_mov_b32 s0, 0x9c773320
	v_fma_f64 v[18:19], v[14:15], v[20:21], -v[18:19]
	s_mov_b32 s1, 0xbc82806c
	v_add_f64 v[18:19], v[18:19], s[0:1]
	s_mov_b32 s0, 0xfceb588a
	v_fma_f64 v[20:21], v[14:15], v[18:19], -v[20:21]
	;; [unrolled: 4-line block ×22, first 2 shown]
	s_mov_b32 s1, 0x3fe8ea18
	v_add_f64 v[14:15], v[14:15], s[0:1]
	s_mov_b32 s0, 0x652b82fe
	s_mov_b32 s1, 0x3ff71547
	v_mul_f64 v[18:19], |v[16:17]|, s[0:1]
	s_mov_b32 s0, 0xfefa39ef
	v_rndne_f64_e32 v[18:19], v[18:19]
	s_mov_b32 s1, 0xbfe62e42
	v_fma_f64 v[22:23], v[18:19], s[0:1], |v[16:17]|
	s_mov_b32 s0, 0x3b39803f
	s_mov_b32 s1, 0xbc7abc9e
	v_fmac_f64_e32 v[22:23], s[0:1], v[18:19]
	s_mov_b32 s0, 0x6a5dcb37
	v_mov_b32_e32 v25, 0x3e928af3
	s_mov_b32 s1, 0x3e5ade15
	v_fmac_f64_e32 v[24:25], s[0:1], v[22:23]
	v_mov_b32_e32 v26, 0x623fde64
	v_mov_b32_e32 v27, 0x3ec71dee
	v_fmac_f64_e32 v[26:27], v[22:23], v[24:25]
	v_mov_b32_e32 v24, 0x7c89e6b0
	v_mov_b32_e32 v25, 0x3efa0199
	;; [unrolled: 3-line block ×8, first 2 shown]
	v_fmac_f64_e32 v[24:25], v[22:23], v[26:27]
	v_fma_f64 v[24:25], v[22:23], v[24:25], 1.0
	s_mov_b32 s0, 0
	v_fma_f64 v[22:23], v[22:23], v[24:25], 1.0
	v_cvt_i32_f64_e32 v1, v[18:19]
	s_mov_b32 s1, 0x40900000
	v_ldexp_f64 v[18:19], v[22:23], v1
	v_mov_b32_e32 v1, 0x7ff00000
	v_cmp_ngt_f64_e64 s[0:1], |v[16:17]|, s[0:1]
	v_cmp_ngt_f64_e32 vcc, 0, v[16:17]
	v_add_f64 v[20:21], v[14:15], -v[20:21]
	v_cndmask_b32_e64 v19, v1, v19, s[0:1]
	v_cndmask_b32_e64 v18, 0, v18, s[0:1]
                                        ; implicit-def: $vgpr14_vgpr15
	s_and_saveexec_b64 s[0:1], vcc
	s_xor_b64 s[0:1], exec, s[0:1]
	s_cbranch_execz .LBB7_95
; %bb.94:
	s_mov_b32 s8, 0
	s_brev_b32 s9, 8
	v_mov_b32_e32 v1, 0x100
	v_cmp_lt_f64_e64 vcc, |v[16:17]|, s[8:9]
	v_mul_f64 v[20:21], v[20:21], 0.5
	v_mul_f64 v[18:19], v[18:19], v[20:21]
	v_cndmask_b32_e32 v1, 0, v1, vcc
	v_ldexp_f64 v[14:15], |v[16:17]|, v1
	v_rsq_f64_e32 v[16:17], v[14:15]
	v_mov_b32_e32 v1, 0xffffff80
	v_cndmask_b32_e32 v1, 0, v1, vcc
	v_mul_f64 v[20:21], v[14:15], v[16:17]
	v_mul_f64 v[16:17], v[16:17], 0.5
	v_fma_f64 v[22:23], -v[16:17], v[20:21], 0.5
	v_fmac_f64_e32 v[20:21], v[20:21], v[22:23]
	v_fma_f64 v[24:25], -v[20:21], v[20:21], v[14:15]
	v_fmac_f64_e32 v[16:17], v[16:17], v[22:23]
	v_fmac_f64_e32 v[20:21], v[24:25], v[16:17]
	v_fma_f64 v[22:23], -v[20:21], v[20:21], v[14:15]
	v_fmac_f64_e32 v[20:21], v[22:23], v[16:17]
	v_ldexp_f64 v[16:17], v[20:21], v1
	v_mov_b32_e32 v1, 0x260
	v_cmp_class_f64_e32 vcc, v[14:15], v1
	s_nop 1
	v_cndmask_b32_e32 v15, v17, v15, vcc
	v_cndmask_b32_e32 v14, v16, v14, vcc
	v_div_scale_f64 v[16:17], s[8:9], v[14:15], v[14:15], v[18:19]
	v_rcp_f64_e32 v[20:21], v[16:17]
	s_nop 0
	v_fma_f64 v[22:23], -v[16:17], v[20:21], 1.0
	v_fmac_f64_e32 v[20:21], v[20:21], v[22:23]
	v_fma_f64 v[22:23], -v[16:17], v[20:21], 1.0
	v_fmac_f64_e32 v[20:21], v[20:21], v[22:23]
	v_div_scale_f64 v[22:23], vcc, v[18:19], v[14:15], v[18:19]
	v_mul_f64 v[24:25], v[22:23], v[20:21]
	v_fma_f64 v[16:17], -v[16:17], v[24:25], v[22:23]
	s_nop 1
	v_div_fmas_f64 v[16:17], v[16:17], v[20:21], v[24:25]
	v_div_fixup_f64 v[14:15], v[16:17], v[14:15], v[18:19]
                                        ; implicit-def: $vgpr16_vgpr17
                                        ; implicit-def: $vgpr20_vgpr21
                                        ; implicit-def: $vgpr18_vgpr19
.LBB7_95:
	s_andn2_saveexec_b64 s[0:1], s[0:1]
	s_cbranch_execz .LBB7_97
; %bb.96:
	s_mov_b32 s8, 0
	s_brev_b32 s9, 8
	v_mov_b32_e32 v1, 0x100
	v_cmp_lt_f64_e64 vcc, |v[16:17]|, s[8:9]
	s_nop 1
	v_cndmask_b32_e32 v1, 0, v1, vcc
	v_ldexp_f64 v[14:15], |v[16:17]|, v1
	v_rsq_f64_e32 v[16:17], v[14:15]
	v_mov_b32_e32 v1, 0xffffff80
	v_cndmask_b32_e32 v1, 0, v1, vcc
	v_mul_f64 v[22:23], v[14:15], v[16:17]
	v_mul_f64 v[16:17], v[16:17], 0.5
	v_fma_f64 v[24:25], -v[16:17], v[22:23], 0.5
	v_fmac_f64_e32 v[22:23], v[22:23], v[24:25]
	v_fma_f64 v[26:27], -v[22:23], v[22:23], v[14:15]
	v_fmac_f64_e32 v[16:17], v[16:17], v[24:25]
	v_fmac_f64_e32 v[22:23], v[26:27], v[16:17]
	v_fma_f64 v[24:25], -v[22:23], v[22:23], v[14:15]
	v_fmac_f64_e32 v[22:23], v[24:25], v[16:17]
	v_ldexp_f64 v[16:17], v[22:23], v1
	v_mov_b32_e32 v1, 0x260
	v_cmp_class_f64_e32 vcc, v[14:15], v1
	s_nop 1
	v_cndmask_b32_e32 v15, v17, v15, vcc
	v_cndmask_b32_e32 v14, v16, v14, vcc
	v_mul_f64 v[16:17], v[20:21], -0.5
	v_mul_f64 v[16:17], v[18:19], v[16:17]
	v_div_scale_f64 v[18:19], s[8:9], v[14:15], v[14:15], v[16:17]
	v_rcp_f64_e32 v[20:21], v[18:19]
	s_nop 0
	v_fma_f64 v[22:23], -v[18:19], v[20:21], 1.0
	v_fmac_f64_e32 v[20:21], v[20:21], v[22:23]
	v_fma_f64 v[22:23], -v[18:19], v[20:21], 1.0
	v_fmac_f64_e32 v[20:21], v[20:21], v[22:23]
	v_div_scale_f64 v[22:23], vcc, v[16:17], v[14:15], v[16:17]
	v_mul_f64 v[24:25], v[22:23], v[20:21]
	v_fma_f64 v[18:19], -v[18:19], v[24:25], v[22:23]
	s_nop 1
	v_div_fmas_f64 v[18:19], v[18:19], v[20:21], v[24:25]
	v_div_fixup_f64 v[14:15], v[18:19], v[14:15], v[16:17]
.LBB7_97:
	s_or_b64 exec, exec, s[0:1]
.LBB7_98:
	s_or_b64 exec, exec, s[2:3]
	global_load_dwordx2 v[16:17], v12, s[6:7]
	s_mov_b32 s0, 0
	s_mov_b32 s1, 0x40200000
                                        ; implicit-def: $vgpr12_vgpr13
	s_waitcnt vmcnt(0)
	v_cmp_le_f64_e64 s[0:1], |v[16:17]|, s[0:1]
	s_and_saveexec_b64 s[2:3], s[0:1]
	s_xor_b64 s[0:1], exec, s[2:3]
	s_cbranch_execz .LBB7_104
; %bb.99:
	s_mov_b32 s2, 0xc3c4014
	v_fma_f64 v[12:13], |v[16:17]|, 0.5, -2.0
	v_mov_b32_e32 v18, 0xc38a0576
	v_mov_b32_e32 v19, 0xbc7857d0
	s_mov_b32 s3, 0x3c499f2a
	v_fmac_f64_e32 v[18:19], s[2:3], v[12:13]
	v_mov_b32_e32 v20, 0xc3c4014
	v_mov_b32_e32 v21, 0xbc499f2a
	s_mov_b32 s2, 0xe593bfac
	v_fmac_f64_e32 v[20:21], v[12:13], v[18:19]
	s_mov_b32 s3, 0x3ca663e3
	v_add_f64 v[20:21], v[20:21], s[2:3]
	s_mov_b32 s2, 0x7e0d1573
	v_fma_f64 v[18:19], v[12:13], v[20:21], -v[18:19]
	s_mov_b32 s3, 0xbcd3eaaa
	v_add_f64 v[18:19], v[18:19], s[2:3]
	s_mov_b32 s2, 0x615290c
	v_fma_f64 v[20:21], v[12:13], v[18:19], -v[20:21]
	;; [unrolled: 4-line block ×26, first 2 shown]
	s_mov_b32 s3, 0x3fd02a63
	v_add_f64 v[12:13], v[12:13], s[2:3]
	v_add_f64 v[12:13], v[12:13], -v[20:21]
	s_mov_b32 s2, 0x652b82fe
	v_mul_f64 v[12:13], v[12:13], 0.5
	s_mov_b32 s3, 0x3ff71547
	v_mul_f64 v[18:19], |v[16:17]|, v[12:13]
	v_mul_f64 v[12:13], |v[16:17]|, s[2:3]
	s_mov_b32 s2, 0xfefa39ef
	v_rndne_f64_e32 v[12:13], v[12:13]
	s_mov_b32 s3, 0xbfe62e42
	v_fma_f64 v[20:21], v[12:13], s[2:3], |v[16:17]|
	s_mov_b32 s2, 0x3b39803f
	s_mov_b32 s3, 0xbc7abc9e
	v_fmac_f64_e32 v[20:21], s[2:3], v[12:13]
	s_mov_b32 s2, 0x6a5dcb37
	v_mov_b32_e32 v22, 0xfca7ab0c
	v_mov_b32_e32 v23, 0x3e928af3
	s_mov_b32 s3, 0x3e5ade15
	v_fmac_f64_e32 v[22:23], s[2:3], v[20:21]
	v_mov_b32_e32 v24, 0x623fde64
	v_mov_b32_e32 v25, 0x3ec71dee
	v_fmac_f64_e32 v[24:25], v[20:21], v[22:23]
	v_mov_b32_e32 v22, 0x7c89e6b0
	v_mov_b32_e32 v23, 0x3efa0199
	;; [unrolled: 3-line block ×8, first 2 shown]
	v_fmac_f64_e32 v[22:23], v[20:21], v[24:25]
	v_fma_f64 v[22:23], v[20:21], v[22:23], 1.0
	v_cmp_ngt_f64_e32 vcc, 0, v[16:17]
	v_fma_f64 v[20:21], v[20:21], v[22:23], 1.0
	v_cvt_i32_f64_e32 v1, v[12:13]
                                        ; implicit-def: $vgpr12_vgpr13
	s_and_saveexec_b64 s[2:3], vcc
	s_xor_b64 s[2:3], exec, s[2:3]
; %bb.100:
	s_mov_b32 s8, 0
	s_mov_b32 s9, 0x40900000
	v_ldexp_f64 v[12:13], v[20:21], v1
	v_mov_b32_e32 v1, 0x7ff00000
	v_cmp_ngt_f64_e64 vcc, |v[16:17]|, s[8:9]
                                        ; implicit-def: $vgpr20_vgpr21
                                        ; implicit-def: $vgpr16_vgpr17
	s_nop 1
	v_cndmask_b32_e32 v13, v1, v13, vcc
	v_cndmask_b32_e32 v12, 0, v12, vcc
	v_mul_f64 v[12:13], v[12:13], v[18:19]
                                        ; implicit-def: $vgpr1
                                        ; implicit-def: $vgpr18_vgpr19
; %bb.101:
	s_andn2_saveexec_b64 s[2:3], s[2:3]
; %bb.102:
	s_mov_b32 s8, 0
	s_mov_b32 s9, 0x40900000
	v_ldexp_f64 v[12:13], -v[20:21], v1
	v_mov_b32_e32 v1, 0xfff00000
	v_cmp_ngt_f64_e64 vcc, |v[16:17]|, s[8:9]
	s_nop 1
	v_cndmask_b32_e32 v13, v1, v13, vcc
	v_cndmask_b32_e32 v12, 0, v12, vcc
	v_mul_f64 v[12:13], v[12:13], v[18:19]
; %bb.103:
	s_or_b64 exec, exec, s[2:3]
                                        ; implicit-def: $vgpr16_vgpr17
.LBB7_104:
	s_andn2_saveexec_b64 s[2:3], s[0:1]
	s_cbranch_execz .LBB7_110
; %bb.105:
	s_mov_b32 s0, 0
	v_and_b32_e32 v13, 0x7fffffff, v17
	v_mov_b32_e32 v12, v16
	s_mov_b32 s1, 0x40400000
	v_div_scale_f64 v[18:19], s[8:9], v[12:13], v[12:13], s[0:1]
	v_rcp_f64_e32 v[20:21], v[18:19]
	v_div_scale_f64 v[12:13], vcc, s[0:1], v[12:13], s[0:1]
	v_mov_b32_e32 v24, 0xfca7ab0c
	v_fma_f64 v[22:23], -v[18:19], v[20:21], 1.0
	v_fmac_f64_e32 v[20:21], v[20:21], v[22:23]
	v_fma_f64 v[22:23], -v[18:19], v[20:21], 1.0
	v_fmac_f64_e32 v[20:21], v[20:21], v[22:23]
	v_mul_f64 v[22:23], v[12:13], v[20:21]
	v_fma_f64 v[12:13], -v[18:19], v[22:23], v[12:13]
	v_div_fmas_f64 v[12:13], v[12:13], v[20:21], v[22:23]
	v_div_fixup_f64 v[12:13], v[12:13], |v[16:17]|, s[0:1]
	s_mov_b32 s0, 0xb352e8e6
	v_add_f64 v[12:13], v[12:13], -2.0
	v_mov_b32_e32 v18, 0xea87b950
	v_mov_b32_e32 v19, 0x3c545b8a
	s_mov_b32 s1, 0x3c61556d
	v_fmac_f64_e32 v[18:19], s[0:1], v[12:13]
	v_mov_b32_e32 v20, 0xb352e8e6
	v_mov_b32_e32 v21, 0xbc61556d
	s_mov_b32 s0, 0xb2532277
	v_fmac_f64_e32 v[20:21], v[12:13], v[18:19]
	s_mov_b32 s1, 0xbc8acea3
	v_add_f64 v[20:21], v[20:21], s[0:1]
	s_mov_b32 s0, 0x9c773320
	v_fma_f64 v[18:19], v[12:13], v[20:21], -v[18:19]
	s_mov_b32 s1, 0xbc82806c
	v_add_f64 v[18:19], v[18:19], s[0:1]
	s_mov_b32 s0, 0xfceb588a
	v_fma_f64 v[20:21], v[12:13], v[18:19], -v[20:21]
	;; [unrolled: 4-line block ×22, first 2 shown]
	s_mov_b32 s1, 0x3fe8ea18
	v_add_f64 v[12:13], v[12:13], s[0:1]
	s_mov_b32 s0, 0x652b82fe
	s_mov_b32 s1, 0x3ff71547
	v_mul_f64 v[18:19], |v[16:17]|, s[0:1]
	s_mov_b32 s0, 0xfefa39ef
	v_rndne_f64_e32 v[18:19], v[18:19]
	s_mov_b32 s1, 0xbfe62e42
	v_fma_f64 v[22:23], v[18:19], s[0:1], |v[16:17]|
	s_mov_b32 s0, 0x3b39803f
	s_mov_b32 s1, 0xbc7abc9e
	v_fmac_f64_e32 v[22:23], s[0:1], v[18:19]
	s_mov_b32 s0, 0x6a5dcb37
	v_mov_b32_e32 v25, 0x3e928af3
	s_mov_b32 s1, 0x3e5ade15
	v_fmac_f64_e32 v[24:25], s[0:1], v[22:23]
	v_mov_b32_e32 v26, 0x623fde64
	v_mov_b32_e32 v27, 0x3ec71dee
	v_fmac_f64_e32 v[26:27], v[22:23], v[24:25]
	v_mov_b32_e32 v24, 0x7c89e6b0
	v_mov_b32_e32 v25, 0x3efa0199
	;; [unrolled: 3-line block ×8, first 2 shown]
	v_fmac_f64_e32 v[24:25], v[22:23], v[26:27]
	v_fma_f64 v[24:25], v[22:23], v[24:25], 1.0
	s_mov_b32 s0, 0
	v_fma_f64 v[22:23], v[22:23], v[24:25], 1.0
	v_cvt_i32_f64_e32 v1, v[18:19]
	s_mov_b32 s1, 0x40900000
	v_ldexp_f64 v[18:19], v[22:23], v1
	v_mov_b32_e32 v1, 0x7ff00000
	v_cmp_ngt_f64_e64 s[0:1], |v[16:17]|, s[0:1]
	v_cmp_ngt_f64_e32 vcc, 0, v[16:17]
	v_add_f64 v[20:21], v[12:13], -v[20:21]
	v_cndmask_b32_e64 v19, v1, v19, s[0:1]
	v_cndmask_b32_e64 v18, 0, v18, s[0:1]
                                        ; implicit-def: $vgpr12_vgpr13
	s_and_saveexec_b64 s[0:1], vcc
	s_xor_b64 s[0:1], exec, s[0:1]
	s_cbranch_execz .LBB7_107
; %bb.106:
	s_mov_b32 s8, 0
	s_brev_b32 s9, 8
	v_mov_b32_e32 v1, 0x100
	v_cmp_lt_f64_e64 vcc, |v[16:17]|, s[8:9]
	v_mul_f64 v[20:21], v[20:21], 0.5
	v_mul_f64 v[18:19], v[18:19], v[20:21]
	v_cndmask_b32_e32 v1, 0, v1, vcc
	v_ldexp_f64 v[12:13], |v[16:17]|, v1
	v_rsq_f64_e32 v[16:17], v[12:13]
	v_mov_b32_e32 v1, 0xffffff80
	v_cndmask_b32_e32 v1, 0, v1, vcc
	v_mul_f64 v[20:21], v[12:13], v[16:17]
	v_mul_f64 v[16:17], v[16:17], 0.5
	v_fma_f64 v[22:23], -v[16:17], v[20:21], 0.5
	v_fmac_f64_e32 v[20:21], v[20:21], v[22:23]
	v_fma_f64 v[24:25], -v[20:21], v[20:21], v[12:13]
	v_fmac_f64_e32 v[16:17], v[16:17], v[22:23]
	v_fmac_f64_e32 v[20:21], v[24:25], v[16:17]
	v_fma_f64 v[22:23], -v[20:21], v[20:21], v[12:13]
	v_fmac_f64_e32 v[20:21], v[22:23], v[16:17]
	v_ldexp_f64 v[16:17], v[20:21], v1
	v_mov_b32_e32 v1, 0x260
	v_cmp_class_f64_e32 vcc, v[12:13], v1
	s_nop 1
	v_cndmask_b32_e32 v13, v17, v13, vcc
	v_cndmask_b32_e32 v12, v16, v12, vcc
	v_div_scale_f64 v[16:17], s[8:9], v[12:13], v[12:13], v[18:19]
	v_rcp_f64_e32 v[20:21], v[16:17]
	s_nop 0
	v_fma_f64 v[22:23], -v[16:17], v[20:21], 1.0
	v_fmac_f64_e32 v[20:21], v[20:21], v[22:23]
	v_fma_f64 v[22:23], -v[16:17], v[20:21], 1.0
	v_fmac_f64_e32 v[20:21], v[20:21], v[22:23]
	v_div_scale_f64 v[22:23], vcc, v[18:19], v[12:13], v[18:19]
	v_mul_f64 v[24:25], v[22:23], v[20:21]
	v_fma_f64 v[16:17], -v[16:17], v[24:25], v[22:23]
	s_nop 1
	v_div_fmas_f64 v[16:17], v[16:17], v[20:21], v[24:25]
	v_div_fixup_f64 v[12:13], v[16:17], v[12:13], v[18:19]
                                        ; implicit-def: $vgpr16_vgpr17
                                        ; implicit-def: $vgpr20_vgpr21
                                        ; implicit-def: $vgpr18_vgpr19
.LBB7_107:
	s_andn2_saveexec_b64 s[0:1], s[0:1]
	s_cbranch_execz .LBB7_109
; %bb.108:
	s_mov_b32 s8, 0
	s_brev_b32 s9, 8
	v_mov_b32_e32 v1, 0x100
	v_cmp_lt_f64_e64 vcc, |v[16:17]|, s[8:9]
	s_nop 1
	v_cndmask_b32_e32 v1, 0, v1, vcc
	v_ldexp_f64 v[12:13], |v[16:17]|, v1
	v_rsq_f64_e32 v[16:17], v[12:13]
	v_mov_b32_e32 v1, 0xffffff80
	v_cndmask_b32_e32 v1, 0, v1, vcc
	v_mul_f64 v[22:23], v[12:13], v[16:17]
	v_mul_f64 v[16:17], v[16:17], 0.5
	v_fma_f64 v[24:25], -v[16:17], v[22:23], 0.5
	v_fmac_f64_e32 v[22:23], v[22:23], v[24:25]
	v_fma_f64 v[26:27], -v[22:23], v[22:23], v[12:13]
	v_fmac_f64_e32 v[16:17], v[16:17], v[24:25]
	v_fmac_f64_e32 v[22:23], v[26:27], v[16:17]
	v_fma_f64 v[24:25], -v[22:23], v[22:23], v[12:13]
	v_fmac_f64_e32 v[22:23], v[24:25], v[16:17]
	v_ldexp_f64 v[16:17], v[22:23], v1
	v_mov_b32_e32 v1, 0x260
	v_cmp_class_f64_e32 vcc, v[12:13], v1
	s_nop 1
	v_cndmask_b32_e32 v13, v17, v13, vcc
	v_cndmask_b32_e32 v12, v16, v12, vcc
	v_mul_f64 v[16:17], v[20:21], -0.5
	v_mul_f64 v[16:17], v[18:19], v[16:17]
	v_div_scale_f64 v[18:19], s[8:9], v[12:13], v[12:13], v[16:17]
	v_rcp_f64_e32 v[20:21], v[18:19]
	s_nop 0
	v_fma_f64 v[22:23], -v[18:19], v[20:21], 1.0
	v_fmac_f64_e32 v[20:21], v[20:21], v[22:23]
	v_fma_f64 v[22:23], -v[18:19], v[20:21], 1.0
	v_fmac_f64_e32 v[20:21], v[20:21], v[22:23]
	v_div_scale_f64 v[22:23], vcc, v[16:17], v[12:13], v[16:17]
	v_mul_f64 v[24:25], v[22:23], v[20:21]
	v_fma_f64 v[18:19], -v[18:19], v[24:25], v[22:23]
	s_nop 1
	v_div_fmas_f64 v[18:19], v[18:19], v[20:21], v[24:25]
	v_div_fixup_f64 v[12:13], v[18:19], v[12:13], v[16:17]
.LBB7_109:
	s_or_b64 exec, exec, s[0:1]
.LBB7_110:
	s_or_b64 exec, exec, s[2:3]
	global_load_dwordx2 v[8:9], v8, s[6:7]
	s_mov_b32 s0, 0
	s_mov_b32 s1, 0x40200000
                                        ; implicit-def: $vgpr18_vgpr19
	s_waitcnt vmcnt(0)
	v_cmp_le_f64_e64 s[0:1], |v[8:9]|, s[0:1]
	s_and_saveexec_b64 s[2:3], s[0:1]
	s_xor_b64 s[0:1], exec, s[2:3]
	s_cbranch_execz .LBB7_116
; %bb.111:
	s_mov_b32 s2, 0xc3c4014
	v_fma_f64 v[16:17], |v[8:9]|, 0.5, -2.0
	v_mov_b32_e32 v18, 0xc38a0576
	v_mov_b32_e32 v19, 0xbc7857d0
	s_mov_b32 s3, 0x3c499f2a
	v_fmac_f64_e32 v[18:19], s[2:3], v[16:17]
	v_mov_b32_e32 v20, 0xc3c4014
	v_mov_b32_e32 v21, 0xbc499f2a
	s_mov_b32 s2, 0xe593bfac
	v_fmac_f64_e32 v[20:21], v[16:17], v[18:19]
	s_mov_b32 s3, 0x3ca663e3
	v_add_f64 v[20:21], v[20:21], s[2:3]
	s_mov_b32 s2, 0x7e0d1573
	v_fma_f64 v[18:19], v[16:17], v[20:21], -v[18:19]
	s_mov_b32 s3, 0xbcd3eaaa
	v_add_f64 v[18:19], v[18:19], s[2:3]
	s_mov_b32 s2, 0x615290c
	v_fma_f64 v[20:21], v[16:17], v[18:19], -v[20:21]
	;; [unrolled: 4-line block ×26, first 2 shown]
	s_mov_b32 s3, 0x3fd02a63
	v_add_f64 v[16:17], v[16:17], s[2:3]
	s_mov_b32 s2, 0x652b82fe
	s_mov_b32 s3, 0x3ff71547
	v_mul_f64 v[18:19], |v[8:9]|, s[2:3]
	s_mov_b32 s2, 0xfefa39ef
	v_rndne_f64_e32 v[18:19], v[18:19]
	s_mov_b32 s3, 0xbfe62e42
	v_add_f64 v[16:17], v[16:17], -v[20:21]
	v_fma_f64 v[20:21], v[18:19], s[2:3], |v[8:9]|
	s_mov_b32 s2, 0x3b39803f
	s_mov_b32 s3, 0xbc7abc9e
	v_fmac_f64_e32 v[20:21], s[2:3], v[18:19]
	s_mov_b32 s2, 0x6a5dcb37
	v_mov_b32_e32 v22, 0xfca7ab0c
	v_mov_b32_e32 v23, 0x3e928af3
	s_mov_b32 s3, 0x3e5ade15
	v_fmac_f64_e32 v[22:23], s[2:3], v[20:21]
	v_mov_b32_e32 v24, 0x623fde64
	v_mov_b32_e32 v25, 0x3ec71dee
	v_fmac_f64_e32 v[24:25], v[20:21], v[22:23]
	v_mov_b32_e32 v22, 0x7c89e6b0
	v_mov_b32_e32 v23, 0x3efa0199
	;; [unrolled: 3-line block ×8, first 2 shown]
	v_fmac_f64_e32 v[22:23], v[20:21], v[24:25]
	v_mul_f64 v[16:17], v[16:17], 0.5
	v_fma_f64 v[22:23], v[20:21], v[22:23], 1.0
	v_cmp_ngt_f64_e32 vcc, 0, v[8:9]
	v_mul_f64 v[16:17], |v[8:9]|, v[16:17]
	v_fma_f64 v[20:21], v[20:21], v[22:23], 1.0
	v_cvt_i32_f64_e32 v1, v[18:19]
                                        ; implicit-def: $vgpr18_vgpr19
	s_and_saveexec_b64 s[2:3], vcc
	s_xor_b64 s[2:3], exec, s[2:3]
; %bb.112:
	s_mov_b32 s6, 0
	s_mov_b32 s7, 0x40900000
	v_ldexp_f64 v[18:19], v[20:21], v1
	v_mov_b32_e32 v1, 0x7ff00000
	v_cmp_ngt_f64_e64 vcc, |v[8:9]|, s[6:7]
                                        ; implicit-def: $vgpr20_vgpr21
	s_nop 1
	v_cndmask_b32_e32 v9, v1, v19, vcc
	v_cndmask_b32_e32 v8, 0, v18, vcc
	v_mul_f64 v[18:19], v[8:9], v[16:17]
                                        ; implicit-def: $vgpr1
                                        ; implicit-def: $vgpr8_vgpr9
                                        ; implicit-def: $vgpr16_vgpr17
; %bb.113:
	s_andn2_saveexec_b64 s[2:3], s[2:3]
; %bb.114:
	s_mov_b32 s6, 0
	s_mov_b32 s7, 0x40900000
	v_ldexp_f64 v[18:19], -v[20:21], v1
	v_mov_b32_e32 v1, 0xfff00000
	v_cmp_ngt_f64_e64 vcc, |v[8:9]|, s[6:7]
	s_nop 1
	v_cndmask_b32_e32 v9, v1, v19, vcc
	v_cndmask_b32_e32 v8, 0, v18, vcc
	v_mul_f64 v[18:19], v[8:9], v[16:17]
; %bb.115:
	s_or_b64 exec, exec, s[2:3]
                                        ; implicit-def: $vgpr8_vgpr9
.LBB7_116:
	s_andn2_saveexec_b64 s[2:3], s[0:1]
	s_cbranch_execz .LBB7_122
; %bb.117:
	s_mov_b32 s0, 0
	v_and_b32_e32 v17, 0x7fffffff, v9
	v_mov_b32_e32 v16, v8
	s_mov_b32 s1, 0x40400000
	v_div_scale_f64 v[18:19], s[6:7], v[16:17], v[16:17], s[0:1]
	v_rcp_f64_e32 v[20:21], v[18:19]
	v_div_scale_f64 v[16:17], vcc, s[0:1], v[16:17], s[0:1]
	v_mov_b32_e32 v24, 0xfca7ab0c
	v_fma_f64 v[22:23], -v[18:19], v[20:21], 1.0
	v_fmac_f64_e32 v[20:21], v[20:21], v[22:23]
	v_fma_f64 v[22:23], -v[18:19], v[20:21], 1.0
	v_fmac_f64_e32 v[20:21], v[20:21], v[22:23]
	v_mul_f64 v[22:23], v[16:17], v[20:21]
	v_fma_f64 v[16:17], -v[18:19], v[22:23], v[16:17]
	v_div_fmas_f64 v[16:17], v[16:17], v[20:21], v[22:23]
	v_div_fixup_f64 v[16:17], v[16:17], |v[8:9]|, s[0:1]
	s_mov_b32 s0, 0xb352e8e6
	v_add_f64 v[16:17], v[16:17], -2.0
	v_mov_b32_e32 v18, 0xea87b950
	v_mov_b32_e32 v19, 0x3c545b8a
	s_mov_b32 s1, 0x3c61556d
	v_fmac_f64_e32 v[18:19], s[0:1], v[16:17]
	v_mov_b32_e32 v20, 0xb352e8e6
	v_mov_b32_e32 v21, 0xbc61556d
	s_mov_b32 s0, 0xb2532277
	v_fmac_f64_e32 v[20:21], v[16:17], v[18:19]
	s_mov_b32 s1, 0xbc8acea3
	v_add_f64 v[20:21], v[20:21], s[0:1]
	s_mov_b32 s0, 0x9c773320
	v_fma_f64 v[18:19], v[16:17], v[20:21], -v[18:19]
	s_mov_b32 s1, 0xbc82806c
	v_add_f64 v[18:19], v[18:19], s[0:1]
	s_mov_b32 s0, 0xfceb588a
	v_fma_f64 v[20:21], v[16:17], v[18:19], -v[20:21]
	;; [unrolled: 4-line block ×22, first 2 shown]
	s_mov_b32 s1, 0x3fe8ea18
	v_add_f64 v[18:19], v[16:17], s[0:1]
	s_mov_b32 s0, 0x652b82fe
	s_mov_b32 s1, 0x3ff71547
	v_mul_f64 v[16:17], |v[8:9]|, s[0:1]
	s_mov_b32 s0, 0xfefa39ef
	v_rndne_f64_e32 v[16:17], v[16:17]
	s_mov_b32 s1, 0xbfe62e42
	v_fma_f64 v[22:23], v[16:17], s[0:1], |v[8:9]|
	s_mov_b32 s0, 0x3b39803f
	s_mov_b32 s1, 0xbc7abc9e
	v_fmac_f64_e32 v[22:23], s[0:1], v[16:17]
	s_mov_b32 s0, 0x6a5dcb37
	v_mov_b32_e32 v25, 0x3e928af3
	s_mov_b32 s1, 0x3e5ade15
	v_fmac_f64_e32 v[24:25], s[0:1], v[22:23]
	v_mov_b32_e32 v26, 0x623fde64
	v_mov_b32_e32 v27, 0x3ec71dee
	v_fmac_f64_e32 v[26:27], v[22:23], v[24:25]
	v_mov_b32_e32 v24, 0x7c89e6b0
	v_mov_b32_e32 v25, 0x3efa0199
	v_fmac_f64_e32 v[24:25], v[22:23], v[26:27]
	v_mov_b32_e32 v26, 0x14761f6e
	v_mov_b32_e32 v27, 0x3f2a01a0
	v_fmac_f64_e32 v[26:27], v[22:23], v[24:25]
	v_mov_b32_e32 v24, 0x1852b7b0
	v_mov_b32_e32 v25, 0x3f56c16c
	v_fmac_f64_e32 v[24:25], v[22:23], v[26:27]
	v_mov_b32_e32 v26, 0x11122322
	v_mov_b32_e32 v27, 0x3f811111
	v_fmac_f64_e32 v[26:27], v[22:23], v[24:25]
	v_mov_b32_e32 v24, 0x555502a1
	v_mov_b32_e32 v25, 0x3fa55555
	v_fmac_f64_e32 v[24:25], v[22:23], v[26:27]
	v_mov_b32_e32 v26, 0x55555511
	v_mov_b32_e32 v27, 0x3fc55555
	v_fmac_f64_e32 v[26:27], v[22:23], v[24:25]
	v_mov_b32_e32 v24, 11
	v_mov_b32_e32 v25, 0x3fe00000
	v_fmac_f64_e32 v[24:25], v[22:23], v[26:27]
	v_fma_f64 v[24:25], v[22:23], v[24:25], 1.0
	s_mov_b32 s0, 0
	v_fma_f64 v[22:23], v[22:23], v[24:25], 1.0
	v_cvt_i32_f64_e32 v1, v[16:17]
	s_mov_b32 s1, 0x40900000
	v_ldexp_f64 v[16:17], v[22:23], v1
	v_mov_b32_e32 v1, 0x7ff00000
	v_cmp_ngt_f64_e64 s[0:1], |v[8:9]|, s[0:1]
	v_cmp_ngt_f64_e32 vcc, 0, v[8:9]
	v_add_f64 v[20:21], v[18:19], -v[20:21]
	v_cndmask_b32_e64 v17, v1, v17, s[0:1]
	v_cndmask_b32_e64 v16, 0, v16, s[0:1]
                                        ; implicit-def: $vgpr18_vgpr19
	s_and_saveexec_b64 s[0:1], vcc
	s_xor_b64 s[0:1], exec, s[0:1]
	s_cbranch_execz .LBB7_119
; %bb.118:
	s_mov_b32 s6, 0
	s_brev_b32 s7, 8
	v_mov_b32_e32 v1, 0x100
	v_cmp_lt_f64_e64 vcc, |v[8:9]|, s[6:7]
	v_mul_f64 v[20:21], v[20:21], 0.5
	v_mul_f64 v[16:17], v[16:17], v[20:21]
	v_cndmask_b32_e32 v1, 0, v1, vcc
	v_ldexp_f64 v[8:9], |v[8:9]|, v1
	v_rsq_f64_e32 v[18:19], v[8:9]
	v_mov_b32_e32 v1, 0xffffff80
	v_cndmask_b32_e32 v1, 0, v1, vcc
	v_mul_f64 v[20:21], v[8:9], v[18:19]
	v_mul_f64 v[18:19], v[18:19], 0.5
	v_fma_f64 v[22:23], -v[18:19], v[20:21], 0.5
	v_fmac_f64_e32 v[20:21], v[20:21], v[22:23]
	v_fma_f64 v[24:25], -v[20:21], v[20:21], v[8:9]
	v_fmac_f64_e32 v[18:19], v[18:19], v[22:23]
	v_fmac_f64_e32 v[20:21], v[24:25], v[18:19]
	v_fma_f64 v[22:23], -v[20:21], v[20:21], v[8:9]
	v_fmac_f64_e32 v[20:21], v[22:23], v[18:19]
	v_ldexp_f64 v[18:19], v[20:21], v1
	v_mov_b32_e32 v1, 0x260
	v_cmp_class_f64_e32 vcc, v[8:9], v1
	s_nop 1
	v_cndmask_b32_e32 v9, v19, v9, vcc
	v_cndmask_b32_e32 v8, v18, v8, vcc
	v_div_scale_f64 v[18:19], s[6:7], v[8:9], v[8:9], v[16:17]
	v_rcp_f64_e32 v[20:21], v[18:19]
	s_nop 0
	v_fma_f64 v[22:23], -v[18:19], v[20:21], 1.0
	v_fmac_f64_e32 v[20:21], v[20:21], v[22:23]
	v_fma_f64 v[22:23], -v[18:19], v[20:21], 1.0
	v_fmac_f64_e32 v[20:21], v[20:21], v[22:23]
	v_div_scale_f64 v[22:23], vcc, v[16:17], v[8:9], v[16:17]
	v_mul_f64 v[24:25], v[22:23], v[20:21]
	v_fma_f64 v[18:19], -v[18:19], v[24:25], v[22:23]
	s_nop 1
	v_div_fmas_f64 v[18:19], v[18:19], v[20:21], v[24:25]
	v_div_fixup_f64 v[18:19], v[18:19], v[8:9], v[16:17]
                                        ; implicit-def: $vgpr8_vgpr9
                                        ; implicit-def: $vgpr20_vgpr21
                                        ; implicit-def: $vgpr16_vgpr17
.LBB7_119:
	s_andn2_saveexec_b64 s[0:1], s[0:1]
	s_cbranch_execz .LBB7_121
; %bb.120:
	s_mov_b32 s6, 0
	s_brev_b32 s7, 8
	v_mov_b32_e32 v1, 0x100
	v_cmp_lt_f64_e64 vcc, |v[8:9]|, s[6:7]
	s_nop 1
	v_cndmask_b32_e32 v1, 0, v1, vcc
	v_ldexp_f64 v[8:9], |v[8:9]|, v1
	v_rsq_f64_e32 v[18:19], v[8:9]
	v_mov_b32_e32 v1, 0xffffff80
	v_cndmask_b32_e32 v1, 0, v1, vcc
	v_mul_f64 v[22:23], v[8:9], v[18:19]
	v_mul_f64 v[18:19], v[18:19], 0.5
	v_fma_f64 v[24:25], -v[18:19], v[22:23], 0.5
	v_fmac_f64_e32 v[22:23], v[22:23], v[24:25]
	v_fma_f64 v[26:27], -v[22:23], v[22:23], v[8:9]
	v_fmac_f64_e32 v[18:19], v[18:19], v[24:25]
	v_fmac_f64_e32 v[22:23], v[26:27], v[18:19]
	v_fma_f64 v[24:25], -v[22:23], v[22:23], v[8:9]
	v_fmac_f64_e32 v[22:23], v[24:25], v[18:19]
	v_ldexp_f64 v[18:19], v[22:23], v1
	v_mov_b32_e32 v1, 0x260
	v_cmp_class_f64_e32 vcc, v[8:9], v1
	s_nop 1
	v_cndmask_b32_e32 v9, v19, v9, vcc
	v_cndmask_b32_e32 v8, v18, v8, vcc
	v_mul_f64 v[18:19], v[20:21], -0.5
	v_mul_f64 v[16:17], v[16:17], v[18:19]
	v_div_scale_f64 v[18:19], s[6:7], v[8:9], v[8:9], v[16:17]
	v_rcp_f64_e32 v[20:21], v[18:19]
	s_nop 0
	v_fma_f64 v[22:23], -v[18:19], v[20:21], 1.0
	v_fmac_f64_e32 v[20:21], v[20:21], v[22:23]
	v_fma_f64 v[22:23], -v[18:19], v[20:21], 1.0
	v_fmac_f64_e32 v[20:21], v[20:21], v[22:23]
	v_div_scale_f64 v[22:23], vcc, v[16:17], v[8:9], v[16:17]
	v_mul_f64 v[24:25], v[22:23], v[20:21]
	v_fma_f64 v[18:19], -v[18:19], v[24:25], v[22:23]
	s_nop 1
	v_div_fmas_f64 v[18:19], v[18:19], v[20:21], v[24:25]
	v_div_fixup_f64 v[18:19], v[18:19], v[8:9], v[16:17]
.LBB7_121:
	s_or_b64 exec, exec, s[0:1]
.LBB7_122:
	s_or_b64 exec, exec, s[2:3]
	global_store_dwordx2 v0, v[10:11], s[4:5]
	global_store_dwordx2 v2, v[14:15], s[4:5]
	;; [unrolled: 1-line block ×4, first 2 shown]
	s_endpgm
.LBB7_123:
	v_mov_b32_e32 v2, 0
	v_mov_b32_e32 v0, 0
	s_branch .LBB7_129
.LBB7_124:
	v_mov_b32_e32 v2, 0
	v_mov_b32_e32 v0, 0
	s_branch .LBB7_158
.LBB7_125:
	v_mov_b32_e32 v0, 0
	s_mov_b32 s57, 0
	v_mov_b32_e32 v1, v0
                                        ; implicit-def: $vgpr2
	v_mov_b32_e32 v4, v12
.LBB7_126:
	s_and_b32 s4, s58, 3
	s_cmp_eq_u32 s4, 0
	s_cbranch_scc1 .LBB7_129
; %bb.127:
	s_lshl_b32 s0, s57, 3
	s_add_u32 s0, s34, s0
	s_addc_u32 s1, s35, 0
	s_add_u32 s0, s0, 0xc4
	s_addc_u32 s1, s1, 0
	s_mul_i32 s2, s57, 12
	s_add_u32 s2, s34, s2
	s_addc_u32 s3, s35, 0
.LBB7_128:                              ; =>This Inner Loop Header: Depth=1
	s_load_dwordx2 s[6:7], s[2:3], 0x4
	s_load_dword s5, s[2:3], 0xc
	s_load_dwordx2 s[8:9], s[0:1], 0x0
	v_mov_b32_e32 v2, v1
	s_add_u32 s2, s2, 12
	s_waitcnt lgkmcnt(0)
	v_mul_hi_u32 v1, s7, v4
	v_add_u32_e32 v1, v4, v1
	v_lshrrev_b32_e32 v1, s5, v1
	s_addc_u32 s3, s3, 0
	v_mul_lo_u32 v3, v1, s6
	s_add_u32 s0, s0, 8
	v_sub_u32_e32 v5, v4, v3
	s_addc_u32 s1, s1, 0
	s_add_i32 s4, s4, -1
	v_mov_b32_e32 v4, v1
	v_mad_u64_u32 v[2:3], s[6:7], v5, s9, v[2:3]
	v_mad_u64_u32 v[0:1], s[6:7], v5, s8, v[0:1]
	s_cmp_lg_u32 s4, 0
	v_mov_b32_e32 v1, v2
	s_cbranch_scc1 .LBB7_128
.LBB7_129:
	s_cbranch_execnz .LBB7_132
.LBB7_130:
	s_waitcnt lgkmcnt(0)
	v_mul_hi_u32 v0, s25, v12
	v_add_u32_e32 v0, v12, v0
	v_lshrrev_b32_e32 v1, s26, v0
	v_mul_lo_u32 v0, v1, s24
	v_sub_u32_e32 v0, v12, v0
	v_mul_lo_u32 v2, v0, s21
	s_andn2_b64 vcc, exec, s[42:43]
	v_mul_lo_u32 v0, v0, s20
	s_cbranch_vccnz .LBB7_132
; %bb.131:
	v_mul_hi_u32 v3, s40, v1
	v_add_u32_e32 v3, v1, v3
	v_lshrrev_b32_e32 v3, s41, v3
	v_mul_lo_u32 v3, v3, s27
	v_sub_u32_e32 v3, v1, v3
	v_mad_u64_u32 v[0:1], s[0:1], v3, s22, v[0:1]
	v_mad_u64_u32 v[2:3], s[0:1], v3, s23, v[2:3]
.LBB7_132:
	s_waitcnt lgkmcnt(0)
	global_load_dwordx2 v[2:3], v2, s[18:19]
	s_mov_b32 s0, 0
	s_mov_b32 s1, 0x40200000
                                        ; implicit-def: $vgpr6_vgpr7
	s_waitcnt vmcnt(0)
	v_cmp_le_f64_e64 s[0:1], |v[2:3]|, s[0:1]
	s_and_saveexec_b64 s[2:3], s[0:1]
	s_xor_b64 s[0:1], exec, s[2:3]
	s_cbranch_execz .LBB7_138
; %bb.133:
	s_mov_b32 s2, 0xc3c4014
	v_fma_f64 v[4:5], |v[2:3]|, 0.5, -2.0
	v_mov_b32_e32 v6, 0xc38a0576
	v_mov_b32_e32 v7, 0xbc7857d0
	s_mov_b32 s3, 0x3c499f2a
	v_fmac_f64_e32 v[6:7], s[2:3], v[4:5]
	v_mov_b32_e32 v8, 0xc3c4014
	v_mov_b32_e32 v9, 0xbc499f2a
	s_mov_b32 s2, 0xe593bfac
	v_fmac_f64_e32 v[8:9], v[4:5], v[6:7]
	s_mov_b32 s3, 0x3ca663e3
	v_add_f64 v[8:9], v[8:9], s[2:3]
	s_mov_b32 s2, 0x7e0d1573
	v_fma_f64 v[6:7], v[4:5], v[8:9], -v[6:7]
	s_mov_b32 s3, 0xbcd3eaaa
	v_add_f64 v[6:7], v[6:7], s[2:3]
	s_mov_b32 s2, 0x615290c
	v_fma_f64 v[8:9], v[4:5], v[6:7], -v[8:9]
	;; [unrolled: 4-line block ×26, first 2 shown]
	s_mov_b32 s3, 0x3fd02a63
	v_add_f64 v[4:5], v[4:5], s[2:3]
	s_mov_b32 s2, 0x652b82fe
	s_mov_b32 s3, 0x3ff71547
	v_mul_f64 v[6:7], |v[2:3]|, s[2:3]
	s_mov_b32 s2, 0xfefa39ef
	v_rndne_f64_e32 v[6:7], v[6:7]
	s_mov_b32 s3, 0xbfe62e42
	v_add_f64 v[4:5], v[4:5], -v[8:9]
	v_fma_f64 v[8:9], v[6:7], s[2:3], |v[2:3]|
	s_mov_b32 s2, 0x3b39803f
	s_mov_b32 s3, 0xbc7abc9e
	v_fmac_f64_e32 v[8:9], s[2:3], v[6:7]
	s_mov_b32 s2, 0x6a5dcb37
	v_mov_b32_e32 v10, 0xfca7ab0c
	v_mov_b32_e32 v11, 0x3e928af3
	s_mov_b32 s3, 0x3e5ade15
	v_fmac_f64_e32 v[10:11], s[2:3], v[8:9]
	v_mov_b32_e32 v14, 0x623fde64
	v_mov_b32_e32 v15, 0x3ec71dee
	v_fmac_f64_e32 v[14:15], v[8:9], v[10:11]
	v_mov_b32_e32 v10, 0x7c89e6b0
	v_mov_b32_e32 v11, 0x3efa0199
	;; [unrolled: 3-line block ×8, first 2 shown]
	v_fmac_f64_e32 v[10:11], v[8:9], v[14:15]
	v_mul_f64 v[4:5], v[4:5], 0.5
	v_fma_f64 v[10:11], v[8:9], v[10:11], 1.0
	v_cmp_ngt_f64_e32 vcc, 0, v[2:3]
	v_mul_f64 v[4:5], |v[2:3]|, v[4:5]
	v_fma_f64 v[8:9], v[8:9], v[10:11], 1.0
	v_cvt_i32_f64_e32 v1, v[6:7]
                                        ; implicit-def: $vgpr6_vgpr7
	s_and_saveexec_b64 s[2:3], vcc
	s_xor_b64 s[2:3], exec, s[2:3]
; %bb.134:
	s_mov_b32 s4, 0
	s_mov_b32 s5, 0x40900000
	v_ldexp_f64 v[6:7], v[8:9], v1
	v_mov_b32_e32 v1, 0x7ff00000
	v_cmp_ngt_f64_e64 vcc, |v[2:3]|, s[4:5]
                                        ; implicit-def: $vgpr8_vgpr9
	s_nop 1
	v_cndmask_b32_e32 v3, v1, v7, vcc
	v_cndmask_b32_e32 v2, 0, v6, vcc
	v_mul_f64 v[6:7], v[2:3], v[4:5]
                                        ; implicit-def: $vgpr1
                                        ; implicit-def: $vgpr2_vgpr3
                                        ; implicit-def: $vgpr4_vgpr5
; %bb.135:
	s_andn2_saveexec_b64 s[2:3], s[2:3]
; %bb.136:
	s_mov_b32 s4, 0
	s_mov_b32 s5, 0x40900000
	v_ldexp_f64 v[6:7], -v[8:9], v1
	v_mov_b32_e32 v1, 0xfff00000
	v_cmp_ngt_f64_e64 vcc, |v[2:3]|, s[4:5]
	s_nop 1
	v_cndmask_b32_e32 v3, v1, v7, vcc
	v_cndmask_b32_e32 v2, 0, v6, vcc
	v_mul_f64 v[6:7], v[2:3], v[4:5]
; %bb.137:
	s_or_b64 exec, exec, s[2:3]
                                        ; implicit-def: $vgpr2_vgpr3
.LBB7_138:
	s_andn2_saveexec_b64 s[2:3], s[0:1]
	s_cbranch_execz .LBB7_144
; %bb.139:
	s_mov_b32 s0, 0
	v_and_b32_e32 v5, 0x7fffffff, v3
	v_mov_b32_e32 v4, v2
	s_mov_b32 s1, 0x40400000
	v_div_scale_f64 v[6:7], s[4:5], v[4:5], v[4:5], s[0:1]
	v_rcp_f64_e32 v[8:9], v[6:7]
	v_div_scale_f64 v[4:5], vcc, s[0:1], v[4:5], s[0:1]
	v_mov_b32_e32 v14, 0xfca7ab0c
	v_fma_f64 v[10:11], -v[6:7], v[8:9], 1.0
	v_fmac_f64_e32 v[8:9], v[8:9], v[10:11]
	v_fma_f64 v[10:11], -v[6:7], v[8:9], 1.0
	v_fmac_f64_e32 v[8:9], v[8:9], v[10:11]
	v_mul_f64 v[10:11], v[4:5], v[8:9]
	v_fma_f64 v[4:5], -v[6:7], v[10:11], v[4:5]
	v_div_fmas_f64 v[4:5], v[4:5], v[8:9], v[10:11]
	v_div_fixup_f64 v[4:5], v[4:5], |v[2:3]|, s[0:1]
	s_mov_b32 s0, 0xb352e8e6
	v_add_f64 v[4:5], v[4:5], -2.0
	v_mov_b32_e32 v6, 0xea87b950
	v_mov_b32_e32 v7, 0x3c545b8a
	s_mov_b32 s1, 0x3c61556d
	v_fmac_f64_e32 v[6:7], s[0:1], v[4:5]
	v_mov_b32_e32 v8, 0xb352e8e6
	v_mov_b32_e32 v9, 0xbc61556d
	s_mov_b32 s0, 0xb2532277
	v_fmac_f64_e32 v[8:9], v[4:5], v[6:7]
	s_mov_b32 s1, 0xbc8acea3
	v_add_f64 v[8:9], v[8:9], s[0:1]
	s_mov_b32 s0, 0x9c773320
	v_fma_f64 v[6:7], v[4:5], v[8:9], -v[6:7]
	s_mov_b32 s1, 0xbc82806c
	v_add_f64 v[6:7], v[6:7], s[0:1]
	s_mov_b32 s0, 0xfceb588a
	v_fma_f64 v[8:9], v[4:5], v[6:7], -v[8:9]
	;; [unrolled: 4-line block ×22, first 2 shown]
	s_mov_b32 s1, 0x3fe8ea18
	v_add_f64 v[6:7], v[4:5], s[0:1]
	s_mov_b32 s0, 0x652b82fe
	s_mov_b32 s1, 0x3ff71547
	v_mul_f64 v[4:5], |v[2:3]|, s[0:1]
	s_mov_b32 s0, 0xfefa39ef
	v_rndne_f64_e32 v[4:5], v[4:5]
	s_mov_b32 s1, 0xbfe62e42
	v_fma_f64 v[10:11], v[4:5], s[0:1], |v[2:3]|
	s_mov_b32 s0, 0x3b39803f
	s_mov_b32 s1, 0xbc7abc9e
	v_fmac_f64_e32 v[10:11], s[0:1], v[4:5]
	s_mov_b32 s0, 0x6a5dcb37
	v_mov_b32_e32 v15, 0x3e928af3
	s_mov_b32 s1, 0x3e5ade15
	v_fmac_f64_e32 v[14:15], s[0:1], v[10:11]
	v_mov_b32_e32 v16, 0x623fde64
	v_mov_b32_e32 v17, 0x3ec71dee
	v_fmac_f64_e32 v[16:17], v[10:11], v[14:15]
	v_mov_b32_e32 v14, 0x7c89e6b0
	v_mov_b32_e32 v15, 0x3efa0199
	;; [unrolled: 3-line block ×8, first 2 shown]
	v_fmac_f64_e32 v[14:15], v[10:11], v[16:17]
	v_fma_f64 v[14:15], v[10:11], v[14:15], 1.0
	s_mov_b32 s0, 0
	v_fma_f64 v[10:11], v[10:11], v[14:15], 1.0
	v_cvt_i32_f64_e32 v1, v[4:5]
	s_mov_b32 s1, 0x40900000
	v_ldexp_f64 v[4:5], v[10:11], v1
	v_mov_b32_e32 v1, 0x7ff00000
	v_cmp_ngt_f64_e64 s[0:1], |v[2:3]|, s[0:1]
	v_cmp_ngt_f64_e32 vcc, 0, v[2:3]
	v_add_f64 v[8:9], v[6:7], -v[8:9]
	v_cndmask_b32_e64 v5, v1, v5, s[0:1]
	v_cndmask_b32_e64 v4, 0, v4, s[0:1]
                                        ; implicit-def: $vgpr6_vgpr7
	s_and_saveexec_b64 s[0:1], vcc
	s_xor_b64 s[0:1], exec, s[0:1]
	s_cbranch_execz .LBB7_141
; %bb.140:
	s_mov_b32 s4, 0
	s_brev_b32 s5, 8
	v_mov_b32_e32 v1, 0x100
	v_cmp_lt_f64_e64 vcc, |v[2:3]|, s[4:5]
	v_mul_f64 v[8:9], v[8:9], 0.5
	v_mul_f64 v[4:5], v[4:5], v[8:9]
	v_cndmask_b32_e32 v1, 0, v1, vcc
	v_ldexp_f64 v[2:3], |v[2:3]|, v1
	v_rsq_f64_e32 v[6:7], v[2:3]
	v_mov_b32_e32 v1, 0xffffff80
	v_cndmask_b32_e32 v1, 0, v1, vcc
	v_mul_f64 v[8:9], v[2:3], v[6:7]
	v_mul_f64 v[6:7], v[6:7], 0.5
	v_fma_f64 v[10:11], -v[6:7], v[8:9], 0.5
	v_fmac_f64_e32 v[8:9], v[8:9], v[10:11]
	v_fma_f64 v[14:15], -v[8:9], v[8:9], v[2:3]
	v_fmac_f64_e32 v[6:7], v[6:7], v[10:11]
	v_fmac_f64_e32 v[8:9], v[14:15], v[6:7]
	v_fma_f64 v[10:11], -v[8:9], v[8:9], v[2:3]
	v_fmac_f64_e32 v[8:9], v[10:11], v[6:7]
	v_ldexp_f64 v[6:7], v[8:9], v1
	v_mov_b32_e32 v1, 0x260
	v_cmp_class_f64_e32 vcc, v[2:3], v1
	s_nop 1
	v_cndmask_b32_e32 v3, v7, v3, vcc
	v_cndmask_b32_e32 v2, v6, v2, vcc
	v_div_scale_f64 v[6:7], s[4:5], v[2:3], v[2:3], v[4:5]
	v_rcp_f64_e32 v[8:9], v[6:7]
	s_nop 0
	v_fma_f64 v[10:11], -v[6:7], v[8:9], 1.0
	v_fmac_f64_e32 v[8:9], v[8:9], v[10:11]
	v_fma_f64 v[10:11], -v[6:7], v[8:9], 1.0
	v_fmac_f64_e32 v[8:9], v[8:9], v[10:11]
	v_div_scale_f64 v[10:11], vcc, v[4:5], v[2:3], v[4:5]
	v_mul_f64 v[14:15], v[10:11], v[8:9]
	v_fma_f64 v[6:7], -v[6:7], v[14:15], v[10:11]
	s_nop 1
	v_div_fmas_f64 v[6:7], v[6:7], v[8:9], v[14:15]
	v_div_fixup_f64 v[6:7], v[6:7], v[2:3], v[4:5]
                                        ; implicit-def: $vgpr2_vgpr3
                                        ; implicit-def: $vgpr8_vgpr9
                                        ; implicit-def: $vgpr4_vgpr5
.LBB7_141:
	s_andn2_saveexec_b64 s[0:1], s[0:1]
	s_cbranch_execz .LBB7_143
; %bb.142:
	s_mov_b32 s4, 0
	s_brev_b32 s5, 8
	v_mov_b32_e32 v1, 0x100
	v_cmp_lt_f64_e64 vcc, |v[2:3]|, s[4:5]
	s_nop 1
	v_cndmask_b32_e32 v1, 0, v1, vcc
	v_ldexp_f64 v[2:3], |v[2:3]|, v1
	v_rsq_f64_e32 v[6:7], v[2:3]
	v_mov_b32_e32 v1, 0xffffff80
	v_cndmask_b32_e32 v1, 0, v1, vcc
	v_mul_f64 v[10:11], v[2:3], v[6:7]
	v_mul_f64 v[6:7], v[6:7], 0.5
	v_fma_f64 v[14:15], -v[6:7], v[10:11], 0.5
	v_fmac_f64_e32 v[10:11], v[10:11], v[14:15]
	v_fma_f64 v[16:17], -v[10:11], v[10:11], v[2:3]
	v_fmac_f64_e32 v[6:7], v[6:7], v[14:15]
	v_fmac_f64_e32 v[10:11], v[16:17], v[6:7]
	v_fma_f64 v[14:15], -v[10:11], v[10:11], v[2:3]
	v_fmac_f64_e32 v[10:11], v[14:15], v[6:7]
	v_ldexp_f64 v[6:7], v[10:11], v1
	v_mov_b32_e32 v1, 0x260
	v_cmp_class_f64_e32 vcc, v[2:3], v1
	s_nop 1
	v_cndmask_b32_e32 v3, v7, v3, vcc
	v_cndmask_b32_e32 v2, v6, v2, vcc
	v_mul_f64 v[6:7], v[8:9], -0.5
	v_mul_f64 v[4:5], v[4:5], v[6:7]
	v_div_scale_f64 v[6:7], s[4:5], v[2:3], v[2:3], v[4:5]
	v_rcp_f64_e32 v[8:9], v[6:7]
	s_nop 0
	v_fma_f64 v[10:11], -v[6:7], v[8:9], 1.0
	v_fmac_f64_e32 v[8:9], v[8:9], v[10:11]
	v_fma_f64 v[10:11], -v[6:7], v[8:9], 1.0
	v_fmac_f64_e32 v[8:9], v[8:9], v[10:11]
	v_div_scale_f64 v[10:11], vcc, v[4:5], v[2:3], v[4:5]
	v_mul_f64 v[14:15], v[10:11], v[8:9]
	v_fma_f64 v[6:7], -v[6:7], v[14:15], v[10:11]
	s_nop 1
	v_div_fmas_f64 v[6:7], v[6:7], v[8:9], v[14:15]
	v_div_fixup_f64 v[6:7], v[6:7], v[2:3], v[4:5]
.LBB7_143:
	s_or_b64 exec, exec, s[0:1]
.LBB7_144:
	s_or_b64 exec, exec, s[2:3]
	v_add_u32_e32 v12, 0x80, v12
	global_store_dwordx2 v0, v[6:7], s[16:17]
	s_or_b64 exec, exec, s[48:49]
	v_cmp_gt_i32_e32 vcc, s55, v12
	s_and_saveexec_b64 s[48:49], vcc
	s_cbranch_execnz .LBB7_16
.LBB7_145:
	s_or_b64 exec, exec, s[48:49]
	v_cmp_gt_i32_e32 vcc, s55, v12
	s_and_saveexec_b64 s[48:49], vcc
	s_cbranch_execz .LBB7_174
.LBB7_146:
	s_andn2_b64 vcc, exec, s[36:37]
	s_cbranch_vccnz .LBB7_152
; %bb.147:
	s_andn2_b64 vcc, exec, s[46:47]
	s_cbranch_vccnz .LBB7_153
; %bb.148:
	s_add_i32 s58, s56, 1
	s_cmp_eq_u32 s54, 2
	s_cbranch_scc1 .LBB7_177
; %bb.149:
	s_and_b32 s57, s58, 28
	s_mov_b32 s59, 0
	v_mov_b32_e32 v0, 0
	v_mov_b32_e32 v2, 0
	s_mov_b64 s[50:51], s[34:35]
	s_mov_b64 s[52:53], s[44:45]
	v_mov_b32_e32 v4, v12
.LBB7_150:                              ; =>This Inner Loop Header: Depth=1
	s_load_dwordx8 s[8:15], s[50:51], 0x4
	s_load_dwordx4 s[28:31], s[50:51], 0x24
	s_load_dwordx8 s[0:7], s[52:53], 0x0
	s_add_u32 s50, s50, 48
	s_addc_u32 s51, s51, 0
	s_waitcnt lgkmcnt(0)
	v_mul_hi_u32 v1, s9, v4
	v_add_u32_e32 v1, v4, v1
	v_lshrrev_b32_e32 v1, s10, v1
	v_mul_lo_u32 v3, v1, s8
	v_mul_hi_u32 v5, s12, v1
	v_sub_u32_e32 v3, v4, v3
	v_add_u32_e32 v4, v1, v5
	v_lshrrev_b32_e32 v4, s13, v4
	v_mul_lo_u32 v6, v4, s11
	v_mul_hi_u32 v7, s15, v4
	v_sub_u32_e32 v1, v1, v6
	v_add_u32_e32 v6, v4, v7
	v_mul_lo_u32 v5, v3, s1
	v_mul_lo_u32 v3, v3, s0
	;; [unrolled: 1-line block ×4, first 2 shown]
	v_lshrrev_b32_e32 v6, s28, v6
	v_add3_u32 v0, v3, v0, v1
	v_mul_hi_u32 v3, s30, v6
	v_add3_u32 v1, v5, v2, v7
	v_mul_lo_u32 v2, v6, s14
	v_add_u32_e32 v3, v6, v3
	v_sub_u32_e32 v2, v4, v2
	v_lshrrev_b32_e32 v4, s31, v3
	s_add_i32 s59, s59, 4
	v_mul_lo_u32 v3, v4, s29
	s_add_u32 s52, s52, 32
	v_sub_u32_e32 v3, v6, v3
	s_addc_u32 s53, s53, 0
	v_mul_lo_u32 v5, v2, s4
	v_mul_lo_u32 v2, v2, s5
	;; [unrolled: 1-line block ×4, first 2 shown]
	s_cmp_eq_u32 s57, s59
	v_add3_u32 v2, v2, v1, v3
	v_add3_u32 v0, v5, v0, v6
	s_cbranch_scc0 .LBB7_150
; %bb.151:
	v_mov_b32_e32 v1, v2
	s_branch .LBB7_178
.LBB7_152:
                                        ; implicit-def: $vgpr2
                                        ; implicit-def: $vgpr0
	s_branch .LBB7_182
.LBB7_153:
	v_mov_b32_e32 v2, 0
	v_mov_b32_e32 v0, 0
	s_branch .LBB7_181
.LBB7_154:
	v_mov_b32_e32 v0, 0
	s_mov_b32 s57, 0
	v_mov_b32_e32 v1, v0
                                        ; implicit-def: $vgpr2
	v_mov_b32_e32 v4, v12
.LBB7_155:
	s_and_b32 s4, s58, 3
	s_cmp_eq_u32 s4, 0
	s_cbranch_scc1 .LBB7_158
; %bb.156:
	s_lshl_b32 s0, s57, 3
	s_add_u32 s0, s34, s0
	s_addc_u32 s1, s35, 0
	s_add_u32 s0, s0, 0xc4
	s_addc_u32 s1, s1, 0
	s_mul_i32 s2, s57, 12
	s_add_u32 s2, s34, s2
	s_addc_u32 s3, s35, 0
.LBB7_157:                              ; =>This Inner Loop Header: Depth=1
	s_load_dwordx2 s[6:7], s[2:3], 0x4
	s_load_dword s5, s[2:3], 0xc
	s_load_dwordx2 s[8:9], s[0:1], 0x0
	v_mov_b32_e32 v2, v1
	s_add_u32 s2, s2, 12
	s_waitcnt lgkmcnt(0)
	v_mul_hi_u32 v1, s7, v4
	v_add_u32_e32 v1, v4, v1
	v_lshrrev_b32_e32 v1, s5, v1
	s_addc_u32 s3, s3, 0
	v_mul_lo_u32 v3, v1, s6
	s_add_u32 s0, s0, 8
	v_sub_u32_e32 v5, v4, v3
	s_addc_u32 s1, s1, 0
	s_add_i32 s4, s4, -1
	v_mov_b32_e32 v4, v1
	v_mad_u64_u32 v[2:3], s[6:7], v5, s9, v[2:3]
	v_mad_u64_u32 v[0:1], s[6:7], v5, s8, v[0:1]
	s_cmp_lg_u32 s4, 0
	v_mov_b32_e32 v1, v2
	s_cbranch_scc1 .LBB7_157
.LBB7_158:
	s_cbranch_execnz .LBB7_161
.LBB7_159:
	s_waitcnt lgkmcnt(0)
	v_mul_hi_u32 v0, s25, v12
	v_add_u32_e32 v0, v12, v0
	v_lshrrev_b32_e32 v1, s26, v0
	v_mul_lo_u32 v0, v1, s24
	v_sub_u32_e32 v0, v12, v0
	v_mul_lo_u32 v2, v0, s21
	s_andn2_b64 vcc, exec, s[42:43]
	v_mul_lo_u32 v0, v0, s20
	s_cbranch_vccnz .LBB7_161
; %bb.160:
	v_mul_hi_u32 v3, s40, v1
	v_add_u32_e32 v3, v1, v3
	v_lshrrev_b32_e32 v3, s41, v3
	v_mul_lo_u32 v3, v3, s27
	v_sub_u32_e32 v3, v1, v3
	v_mad_u64_u32 v[0:1], s[0:1], v3, s22, v[0:1]
	v_mad_u64_u32 v[2:3], s[0:1], v3, s23, v[2:3]
.LBB7_161:
	s_waitcnt lgkmcnt(0)
	global_load_dwordx2 v[2:3], v2, s[18:19]
	s_mov_b32 s0, 0
	s_mov_b32 s1, 0x40200000
                                        ; implicit-def: $vgpr6_vgpr7
	s_waitcnt vmcnt(0)
	v_cmp_le_f64_e64 s[0:1], |v[2:3]|, s[0:1]
	s_and_saveexec_b64 s[2:3], s[0:1]
	s_xor_b64 s[0:1], exec, s[2:3]
	s_cbranch_execz .LBB7_167
; %bb.162:
	s_mov_b32 s2, 0xc3c4014
	v_fma_f64 v[4:5], |v[2:3]|, 0.5, -2.0
	v_mov_b32_e32 v6, 0xc38a0576
	v_mov_b32_e32 v7, 0xbc7857d0
	s_mov_b32 s3, 0x3c499f2a
	v_fmac_f64_e32 v[6:7], s[2:3], v[4:5]
	v_mov_b32_e32 v8, 0xc3c4014
	v_mov_b32_e32 v9, 0xbc499f2a
	s_mov_b32 s2, 0xe593bfac
	v_fmac_f64_e32 v[8:9], v[4:5], v[6:7]
	s_mov_b32 s3, 0x3ca663e3
	v_add_f64 v[8:9], v[8:9], s[2:3]
	s_mov_b32 s2, 0x7e0d1573
	v_fma_f64 v[6:7], v[4:5], v[8:9], -v[6:7]
	s_mov_b32 s3, 0xbcd3eaaa
	v_add_f64 v[6:7], v[6:7], s[2:3]
	s_mov_b32 s2, 0x615290c
	v_fma_f64 v[8:9], v[4:5], v[6:7], -v[8:9]
	;; [unrolled: 4-line block ×26, first 2 shown]
	s_mov_b32 s3, 0x3fd02a63
	v_add_f64 v[4:5], v[4:5], s[2:3]
	s_mov_b32 s2, 0x652b82fe
	s_mov_b32 s3, 0x3ff71547
	v_mul_f64 v[6:7], |v[2:3]|, s[2:3]
	s_mov_b32 s2, 0xfefa39ef
	v_rndne_f64_e32 v[6:7], v[6:7]
	s_mov_b32 s3, 0xbfe62e42
	v_add_f64 v[4:5], v[4:5], -v[8:9]
	v_fma_f64 v[8:9], v[6:7], s[2:3], |v[2:3]|
	s_mov_b32 s2, 0x3b39803f
	s_mov_b32 s3, 0xbc7abc9e
	v_fmac_f64_e32 v[8:9], s[2:3], v[6:7]
	s_mov_b32 s2, 0x6a5dcb37
	v_mov_b32_e32 v10, 0xfca7ab0c
	v_mov_b32_e32 v11, 0x3e928af3
	s_mov_b32 s3, 0x3e5ade15
	v_fmac_f64_e32 v[10:11], s[2:3], v[8:9]
	v_mov_b32_e32 v14, 0x623fde64
	v_mov_b32_e32 v15, 0x3ec71dee
	v_fmac_f64_e32 v[14:15], v[8:9], v[10:11]
	v_mov_b32_e32 v10, 0x7c89e6b0
	v_mov_b32_e32 v11, 0x3efa0199
	;; [unrolled: 3-line block ×8, first 2 shown]
	v_fmac_f64_e32 v[10:11], v[8:9], v[14:15]
	v_mul_f64 v[4:5], v[4:5], 0.5
	v_fma_f64 v[10:11], v[8:9], v[10:11], 1.0
	v_cmp_ngt_f64_e32 vcc, 0, v[2:3]
	v_mul_f64 v[4:5], |v[2:3]|, v[4:5]
	v_fma_f64 v[8:9], v[8:9], v[10:11], 1.0
	v_cvt_i32_f64_e32 v1, v[6:7]
                                        ; implicit-def: $vgpr6_vgpr7
	s_and_saveexec_b64 s[2:3], vcc
	s_xor_b64 s[2:3], exec, s[2:3]
; %bb.163:
	s_mov_b32 s4, 0
	s_mov_b32 s5, 0x40900000
	v_ldexp_f64 v[6:7], v[8:9], v1
	v_mov_b32_e32 v1, 0x7ff00000
	v_cmp_ngt_f64_e64 vcc, |v[2:3]|, s[4:5]
                                        ; implicit-def: $vgpr8_vgpr9
	s_nop 1
	v_cndmask_b32_e32 v3, v1, v7, vcc
	v_cndmask_b32_e32 v2, 0, v6, vcc
	v_mul_f64 v[6:7], v[2:3], v[4:5]
                                        ; implicit-def: $vgpr1
                                        ; implicit-def: $vgpr2_vgpr3
                                        ; implicit-def: $vgpr4_vgpr5
; %bb.164:
	s_andn2_saveexec_b64 s[2:3], s[2:3]
; %bb.165:
	s_mov_b32 s4, 0
	s_mov_b32 s5, 0x40900000
	v_ldexp_f64 v[6:7], -v[8:9], v1
	v_mov_b32_e32 v1, 0xfff00000
	v_cmp_ngt_f64_e64 vcc, |v[2:3]|, s[4:5]
	s_nop 1
	v_cndmask_b32_e32 v3, v1, v7, vcc
	v_cndmask_b32_e32 v2, 0, v6, vcc
	v_mul_f64 v[6:7], v[2:3], v[4:5]
; %bb.166:
	s_or_b64 exec, exec, s[2:3]
                                        ; implicit-def: $vgpr2_vgpr3
.LBB7_167:
	s_andn2_saveexec_b64 s[2:3], s[0:1]
	s_cbranch_execz .LBB7_173
; %bb.168:
	s_mov_b32 s0, 0
	v_and_b32_e32 v5, 0x7fffffff, v3
	v_mov_b32_e32 v4, v2
	s_mov_b32 s1, 0x40400000
	v_div_scale_f64 v[6:7], s[4:5], v[4:5], v[4:5], s[0:1]
	v_rcp_f64_e32 v[8:9], v[6:7]
	v_div_scale_f64 v[4:5], vcc, s[0:1], v[4:5], s[0:1]
	v_mov_b32_e32 v14, 0xfca7ab0c
	v_fma_f64 v[10:11], -v[6:7], v[8:9], 1.0
	v_fmac_f64_e32 v[8:9], v[8:9], v[10:11]
	v_fma_f64 v[10:11], -v[6:7], v[8:9], 1.0
	v_fmac_f64_e32 v[8:9], v[8:9], v[10:11]
	v_mul_f64 v[10:11], v[4:5], v[8:9]
	v_fma_f64 v[4:5], -v[6:7], v[10:11], v[4:5]
	v_div_fmas_f64 v[4:5], v[4:5], v[8:9], v[10:11]
	v_div_fixup_f64 v[4:5], v[4:5], |v[2:3]|, s[0:1]
	s_mov_b32 s0, 0xb352e8e6
	v_add_f64 v[4:5], v[4:5], -2.0
	v_mov_b32_e32 v6, 0xea87b950
	v_mov_b32_e32 v7, 0x3c545b8a
	s_mov_b32 s1, 0x3c61556d
	v_fmac_f64_e32 v[6:7], s[0:1], v[4:5]
	v_mov_b32_e32 v8, 0xb352e8e6
	v_mov_b32_e32 v9, 0xbc61556d
	s_mov_b32 s0, 0xb2532277
	v_fmac_f64_e32 v[8:9], v[4:5], v[6:7]
	s_mov_b32 s1, 0xbc8acea3
	v_add_f64 v[8:9], v[8:9], s[0:1]
	s_mov_b32 s0, 0x9c773320
	v_fma_f64 v[6:7], v[4:5], v[8:9], -v[6:7]
	s_mov_b32 s1, 0xbc82806c
	v_add_f64 v[6:7], v[6:7], s[0:1]
	s_mov_b32 s0, 0xfceb588a
	v_fma_f64 v[8:9], v[4:5], v[6:7], -v[8:9]
	;; [unrolled: 4-line block ×22, first 2 shown]
	s_mov_b32 s1, 0x3fe8ea18
	v_add_f64 v[6:7], v[4:5], s[0:1]
	s_mov_b32 s0, 0x652b82fe
	s_mov_b32 s1, 0x3ff71547
	v_mul_f64 v[4:5], |v[2:3]|, s[0:1]
	s_mov_b32 s0, 0xfefa39ef
	v_rndne_f64_e32 v[4:5], v[4:5]
	s_mov_b32 s1, 0xbfe62e42
	v_fma_f64 v[10:11], v[4:5], s[0:1], |v[2:3]|
	s_mov_b32 s0, 0x3b39803f
	s_mov_b32 s1, 0xbc7abc9e
	v_fmac_f64_e32 v[10:11], s[0:1], v[4:5]
	s_mov_b32 s0, 0x6a5dcb37
	v_mov_b32_e32 v15, 0x3e928af3
	s_mov_b32 s1, 0x3e5ade15
	v_fmac_f64_e32 v[14:15], s[0:1], v[10:11]
	v_mov_b32_e32 v16, 0x623fde64
	v_mov_b32_e32 v17, 0x3ec71dee
	v_fmac_f64_e32 v[16:17], v[10:11], v[14:15]
	v_mov_b32_e32 v14, 0x7c89e6b0
	v_mov_b32_e32 v15, 0x3efa0199
	;; [unrolled: 3-line block ×8, first 2 shown]
	v_fmac_f64_e32 v[14:15], v[10:11], v[16:17]
	v_fma_f64 v[14:15], v[10:11], v[14:15], 1.0
	s_mov_b32 s0, 0
	v_fma_f64 v[10:11], v[10:11], v[14:15], 1.0
	v_cvt_i32_f64_e32 v1, v[4:5]
	s_mov_b32 s1, 0x40900000
	v_ldexp_f64 v[4:5], v[10:11], v1
	v_mov_b32_e32 v1, 0x7ff00000
	v_cmp_ngt_f64_e64 s[0:1], |v[2:3]|, s[0:1]
	v_cmp_ngt_f64_e32 vcc, 0, v[2:3]
	v_add_f64 v[8:9], v[6:7], -v[8:9]
	v_cndmask_b32_e64 v5, v1, v5, s[0:1]
	v_cndmask_b32_e64 v4, 0, v4, s[0:1]
                                        ; implicit-def: $vgpr6_vgpr7
	s_and_saveexec_b64 s[0:1], vcc
	s_xor_b64 s[0:1], exec, s[0:1]
	s_cbranch_execz .LBB7_170
; %bb.169:
	s_mov_b32 s4, 0
	s_brev_b32 s5, 8
	v_mov_b32_e32 v1, 0x100
	v_cmp_lt_f64_e64 vcc, |v[2:3]|, s[4:5]
	v_mul_f64 v[8:9], v[8:9], 0.5
	v_mul_f64 v[4:5], v[4:5], v[8:9]
	v_cndmask_b32_e32 v1, 0, v1, vcc
	v_ldexp_f64 v[2:3], |v[2:3]|, v1
	v_rsq_f64_e32 v[6:7], v[2:3]
	v_mov_b32_e32 v1, 0xffffff80
	v_cndmask_b32_e32 v1, 0, v1, vcc
	v_mul_f64 v[8:9], v[2:3], v[6:7]
	v_mul_f64 v[6:7], v[6:7], 0.5
	v_fma_f64 v[10:11], -v[6:7], v[8:9], 0.5
	v_fmac_f64_e32 v[8:9], v[8:9], v[10:11]
	v_fma_f64 v[14:15], -v[8:9], v[8:9], v[2:3]
	v_fmac_f64_e32 v[6:7], v[6:7], v[10:11]
	v_fmac_f64_e32 v[8:9], v[14:15], v[6:7]
	v_fma_f64 v[10:11], -v[8:9], v[8:9], v[2:3]
	v_fmac_f64_e32 v[8:9], v[10:11], v[6:7]
	v_ldexp_f64 v[6:7], v[8:9], v1
	v_mov_b32_e32 v1, 0x260
	v_cmp_class_f64_e32 vcc, v[2:3], v1
	s_nop 1
	v_cndmask_b32_e32 v3, v7, v3, vcc
	v_cndmask_b32_e32 v2, v6, v2, vcc
	v_div_scale_f64 v[6:7], s[4:5], v[2:3], v[2:3], v[4:5]
	v_rcp_f64_e32 v[8:9], v[6:7]
	s_nop 0
	v_fma_f64 v[10:11], -v[6:7], v[8:9], 1.0
	v_fmac_f64_e32 v[8:9], v[8:9], v[10:11]
	v_fma_f64 v[10:11], -v[6:7], v[8:9], 1.0
	v_fmac_f64_e32 v[8:9], v[8:9], v[10:11]
	v_div_scale_f64 v[10:11], vcc, v[4:5], v[2:3], v[4:5]
	v_mul_f64 v[14:15], v[10:11], v[8:9]
	v_fma_f64 v[6:7], -v[6:7], v[14:15], v[10:11]
	s_nop 1
	v_div_fmas_f64 v[6:7], v[6:7], v[8:9], v[14:15]
	v_div_fixup_f64 v[6:7], v[6:7], v[2:3], v[4:5]
                                        ; implicit-def: $vgpr2_vgpr3
                                        ; implicit-def: $vgpr8_vgpr9
                                        ; implicit-def: $vgpr4_vgpr5
.LBB7_170:
	s_andn2_saveexec_b64 s[0:1], s[0:1]
	s_cbranch_execz .LBB7_172
; %bb.171:
	s_mov_b32 s4, 0
	s_brev_b32 s5, 8
	v_mov_b32_e32 v1, 0x100
	v_cmp_lt_f64_e64 vcc, |v[2:3]|, s[4:5]
	s_nop 1
	v_cndmask_b32_e32 v1, 0, v1, vcc
	v_ldexp_f64 v[2:3], |v[2:3]|, v1
	v_rsq_f64_e32 v[6:7], v[2:3]
	v_mov_b32_e32 v1, 0xffffff80
	v_cndmask_b32_e32 v1, 0, v1, vcc
	v_mul_f64 v[10:11], v[2:3], v[6:7]
	v_mul_f64 v[6:7], v[6:7], 0.5
	v_fma_f64 v[14:15], -v[6:7], v[10:11], 0.5
	v_fmac_f64_e32 v[10:11], v[10:11], v[14:15]
	v_fma_f64 v[16:17], -v[10:11], v[10:11], v[2:3]
	v_fmac_f64_e32 v[6:7], v[6:7], v[14:15]
	v_fmac_f64_e32 v[10:11], v[16:17], v[6:7]
	v_fma_f64 v[14:15], -v[10:11], v[10:11], v[2:3]
	v_fmac_f64_e32 v[10:11], v[14:15], v[6:7]
	v_ldexp_f64 v[6:7], v[10:11], v1
	v_mov_b32_e32 v1, 0x260
	v_cmp_class_f64_e32 vcc, v[2:3], v1
	s_nop 1
	v_cndmask_b32_e32 v3, v7, v3, vcc
	v_cndmask_b32_e32 v2, v6, v2, vcc
	v_mul_f64 v[6:7], v[8:9], -0.5
	v_mul_f64 v[4:5], v[4:5], v[6:7]
	v_div_scale_f64 v[6:7], s[4:5], v[2:3], v[2:3], v[4:5]
	v_rcp_f64_e32 v[8:9], v[6:7]
	s_nop 0
	v_fma_f64 v[10:11], -v[6:7], v[8:9], 1.0
	v_fmac_f64_e32 v[8:9], v[8:9], v[10:11]
	v_fma_f64 v[10:11], -v[6:7], v[8:9], 1.0
	v_fmac_f64_e32 v[8:9], v[8:9], v[10:11]
	v_div_scale_f64 v[10:11], vcc, v[4:5], v[2:3], v[4:5]
	v_mul_f64 v[14:15], v[10:11], v[8:9]
	v_fma_f64 v[6:7], -v[6:7], v[14:15], v[10:11]
	s_nop 1
	v_div_fmas_f64 v[6:7], v[6:7], v[8:9], v[14:15]
	v_div_fixup_f64 v[6:7], v[6:7], v[2:3], v[4:5]
.LBB7_172:
	s_or_b64 exec, exec, s[0:1]
.LBB7_173:
	s_or_b64 exec, exec, s[2:3]
	v_add_u32_e32 v12, 0x80, v12
	global_store_dwordx2 v0, v[6:7], s[16:17]
	s_or_b64 exec, exec, s[48:49]
	v_cmp_gt_i32_e32 vcc, s55, v12
	s_and_saveexec_b64 s[48:49], vcc
	s_cbranch_execnz .LBB7_146
.LBB7_174:
	s_or_b64 exec, exec, s[48:49]
	v_cmp_gt_i32_e32 vcc, s55, v12
	s_and_saveexec_b64 s[48:49], vcc
	s_cbranch_execnz .LBB7_197
.LBB7_175:
	s_or_b64 exec, exec, s[48:49]
                                        ; implicit-def: $vgpr16
                                        ; implicit-def: $vgpr12
	s_andn2_saveexec_b64 s[0:1], s[38:39]
	s_cbranch_execnz .LBB7_9
.LBB7_176:
	s_endpgm
.LBB7_177:
	v_mov_b32_e32 v0, 0
	s_mov_b32 s57, 0
	v_mov_b32_e32 v1, v0
                                        ; implicit-def: $vgpr2
	v_mov_b32_e32 v4, v12
.LBB7_178:
	s_and_b32 s4, s58, 3
	s_cmp_eq_u32 s4, 0
	s_cbranch_scc1 .LBB7_181
; %bb.179:
	s_lshl_b32 s0, s57, 3
	s_add_u32 s0, s34, s0
	s_addc_u32 s1, s35, 0
	s_add_u32 s0, s0, 0xc4
	s_addc_u32 s1, s1, 0
	s_mul_i32 s2, s57, 12
	s_add_u32 s2, s34, s2
	s_addc_u32 s3, s35, 0
.LBB7_180:                              ; =>This Inner Loop Header: Depth=1
	s_load_dwordx2 s[6:7], s[2:3], 0x4
	s_load_dword s5, s[2:3], 0xc
	s_load_dwordx2 s[8:9], s[0:1], 0x0
	v_mov_b32_e32 v2, v1
	s_add_u32 s2, s2, 12
	s_waitcnt lgkmcnt(0)
	v_mul_hi_u32 v1, s7, v4
	v_add_u32_e32 v1, v4, v1
	v_lshrrev_b32_e32 v1, s5, v1
	s_addc_u32 s3, s3, 0
	v_mul_lo_u32 v3, v1, s6
	s_add_u32 s0, s0, 8
	v_sub_u32_e32 v5, v4, v3
	s_addc_u32 s1, s1, 0
	s_add_i32 s4, s4, -1
	v_mov_b32_e32 v4, v1
	v_mad_u64_u32 v[2:3], s[6:7], v5, s9, v[2:3]
	v_mad_u64_u32 v[0:1], s[6:7], v5, s8, v[0:1]
	s_cmp_lg_u32 s4, 0
	v_mov_b32_e32 v1, v2
	s_cbranch_scc1 .LBB7_180
.LBB7_181:
	s_cbranch_execnz .LBB7_184
.LBB7_182:
	s_waitcnt lgkmcnt(0)
	v_mul_hi_u32 v0, s25, v12
	v_add_u32_e32 v0, v12, v0
	v_lshrrev_b32_e32 v1, s26, v0
	v_mul_lo_u32 v0, v1, s24
	v_sub_u32_e32 v0, v12, v0
	v_mul_lo_u32 v2, v0, s21
	s_andn2_b64 vcc, exec, s[42:43]
	v_mul_lo_u32 v0, v0, s20
	s_cbranch_vccnz .LBB7_184
; %bb.183:
	v_mul_hi_u32 v3, s40, v1
	v_add_u32_e32 v3, v1, v3
	v_lshrrev_b32_e32 v3, s41, v3
	v_mul_lo_u32 v3, v3, s27
	v_sub_u32_e32 v3, v1, v3
	v_mad_u64_u32 v[0:1], s[0:1], v3, s22, v[0:1]
	v_mad_u64_u32 v[2:3], s[0:1], v3, s23, v[2:3]
.LBB7_184:
	s_waitcnt lgkmcnt(0)
	global_load_dwordx2 v[2:3], v2, s[18:19]
	s_mov_b32 s0, 0
	s_mov_b32 s1, 0x40200000
                                        ; implicit-def: $vgpr6_vgpr7
	s_waitcnt vmcnt(0)
	v_cmp_le_f64_e64 s[0:1], |v[2:3]|, s[0:1]
	s_and_saveexec_b64 s[2:3], s[0:1]
	s_xor_b64 s[0:1], exec, s[2:3]
	s_cbranch_execz .LBB7_190
; %bb.185:
	s_mov_b32 s2, 0xc3c4014
	v_fma_f64 v[4:5], |v[2:3]|, 0.5, -2.0
	v_mov_b32_e32 v6, 0xc38a0576
	v_mov_b32_e32 v7, 0xbc7857d0
	s_mov_b32 s3, 0x3c499f2a
	v_fmac_f64_e32 v[6:7], s[2:3], v[4:5]
	v_mov_b32_e32 v8, 0xc3c4014
	v_mov_b32_e32 v9, 0xbc499f2a
	s_mov_b32 s2, 0xe593bfac
	v_fmac_f64_e32 v[8:9], v[4:5], v[6:7]
	s_mov_b32 s3, 0x3ca663e3
	v_add_f64 v[8:9], v[8:9], s[2:3]
	s_mov_b32 s2, 0x7e0d1573
	v_fma_f64 v[6:7], v[4:5], v[8:9], -v[6:7]
	s_mov_b32 s3, 0xbcd3eaaa
	v_add_f64 v[6:7], v[6:7], s[2:3]
	s_mov_b32 s2, 0x615290c
	v_fma_f64 v[8:9], v[4:5], v[6:7], -v[8:9]
	;; [unrolled: 4-line block ×26, first 2 shown]
	s_mov_b32 s3, 0x3fd02a63
	v_add_f64 v[4:5], v[4:5], s[2:3]
	s_mov_b32 s2, 0x652b82fe
	s_mov_b32 s3, 0x3ff71547
	v_mul_f64 v[6:7], |v[2:3]|, s[2:3]
	s_mov_b32 s2, 0xfefa39ef
	v_rndne_f64_e32 v[6:7], v[6:7]
	s_mov_b32 s3, 0xbfe62e42
	v_add_f64 v[4:5], v[4:5], -v[8:9]
	v_fma_f64 v[8:9], v[6:7], s[2:3], |v[2:3]|
	s_mov_b32 s2, 0x3b39803f
	s_mov_b32 s3, 0xbc7abc9e
	v_fmac_f64_e32 v[8:9], s[2:3], v[6:7]
	s_mov_b32 s2, 0x6a5dcb37
	v_mov_b32_e32 v10, 0xfca7ab0c
	v_mov_b32_e32 v11, 0x3e928af3
	s_mov_b32 s3, 0x3e5ade15
	v_fmac_f64_e32 v[10:11], s[2:3], v[8:9]
	v_mov_b32_e32 v14, 0x623fde64
	v_mov_b32_e32 v15, 0x3ec71dee
	v_fmac_f64_e32 v[14:15], v[8:9], v[10:11]
	v_mov_b32_e32 v10, 0x7c89e6b0
	v_mov_b32_e32 v11, 0x3efa0199
	;; [unrolled: 3-line block ×8, first 2 shown]
	v_fmac_f64_e32 v[10:11], v[8:9], v[14:15]
	v_mul_f64 v[4:5], v[4:5], 0.5
	v_fma_f64 v[10:11], v[8:9], v[10:11], 1.0
	v_cmp_ngt_f64_e32 vcc, 0, v[2:3]
	v_mul_f64 v[4:5], |v[2:3]|, v[4:5]
	v_fma_f64 v[8:9], v[8:9], v[10:11], 1.0
	v_cvt_i32_f64_e32 v1, v[6:7]
                                        ; implicit-def: $vgpr6_vgpr7
	s_and_saveexec_b64 s[2:3], vcc
	s_xor_b64 s[2:3], exec, s[2:3]
; %bb.186:
	s_mov_b32 s4, 0
	s_mov_b32 s5, 0x40900000
	v_ldexp_f64 v[6:7], v[8:9], v1
	v_mov_b32_e32 v1, 0x7ff00000
	v_cmp_ngt_f64_e64 vcc, |v[2:3]|, s[4:5]
                                        ; implicit-def: $vgpr8_vgpr9
	s_nop 1
	v_cndmask_b32_e32 v3, v1, v7, vcc
	v_cndmask_b32_e32 v2, 0, v6, vcc
	v_mul_f64 v[6:7], v[2:3], v[4:5]
                                        ; implicit-def: $vgpr1
                                        ; implicit-def: $vgpr2_vgpr3
                                        ; implicit-def: $vgpr4_vgpr5
; %bb.187:
	s_andn2_saveexec_b64 s[2:3], s[2:3]
; %bb.188:
	s_mov_b32 s4, 0
	s_mov_b32 s5, 0x40900000
	v_ldexp_f64 v[6:7], -v[8:9], v1
	v_mov_b32_e32 v1, 0xfff00000
	v_cmp_ngt_f64_e64 vcc, |v[2:3]|, s[4:5]
	s_nop 1
	v_cndmask_b32_e32 v3, v1, v7, vcc
	v_cndmask_b32_e32 v2, 0, v6, vcc
	v_mul_f64 v[6:7], v[2:3], v[4:5]
; %bb.189:
	s_or_b64 exec, exec, s[2:3]
                                        ; implicit-def: $vgpr2_vgpr3
.LBB7_190:
	s_andn2_saveexec_b64 s[2:3], s[0:1]
	s_cbranch_execz .LBB7_196
; %bb.191:
	s_mov_b32 s0, 0
	v_and_b32_e32 v5, 0x7fffffff, v3
	v_mov_b32_e32 v4, v2
	s_mov_b32 s1, 0x40400000
	v_div_scale_f64 v[6:7], s[4:5], v[4:5], v[4:5], s[0:1]
	v_rcp_f64_e32 v[8:9], v[6:7]
	v_div_scale_f64 v[4:5], vcc, s[0:1], v[4:5], s[0:1]
	v_mov_b32_e32 v14, 0xfca7ab0c
	v_fma_f64 v[10:11], -v[6:7], v[8:9], 1.0
	v_fmac_f64_e32 v[8:9], v[8:9], v[10:11]
	v_fma_f64 v[10:11], -v[6:7], v[8:9], 1.0
	v_fmac_f64_e32 v[8:9], v[8:9], v[10:11]
	v_mul_f64 v[10:11], v[4:5], v[8:9]
	v_fma_f64 v[4:5], -v[6:7], v[10:11], v[4:5]
	v_div_fmas_f64 v[4:5], v[4:5], v[8:9], v[10:11]
	v_div_fixup_f64 v[4:5], v[4:5], |v[2:3]|, s[0:1]
	s_mov_b32 s0, 0xb352e8e6
	v_add_f64 v[4:5], v[4:5], -2.0
	v_mov_b32_e32 v6, 0xea87b950
	v_mov_b32_e32 v7, 0x3c545b8a
	s_mov_b32 s1, 0x3c61556d
	v_fmac_f64_e32 v[6:7], s[0:1], v[4:5]
	v_mov_b32_e32 v8, 0xb352e8e6
	v_mov_b32_e32 v9, 0xbc61556d
	s_mov_b32 s0, 0xb2532277
	v_fmac_f64_e32 v[8:9], v[4:5], v[6:7]
	s_mov_b32 s1, 0xbc8acea3
	v_add_f64 v[8:9], v[8:9], s[0:1]
	s_mov_b32 s0, 0x9c773320
	v_fma_f64 v[6:7], v[4:5], v[8:9], -v[6:7]
	s_mov_b32 s1, 0xbc82806c
	v_add_f64 v[6:7], v[6:7], s[0:1]
	s_mov_b32 s0, 0xfceb588a
	v_fma_f64 v[8:9], v[4:5], v[6:7], -v[8:9]
	;; [unrolled: 4-line block ×22, first 2 shown]
	s_mov_b32 s1, 0x3fe8ea18
	v_add_f64 v[6:7], v[4:5], s[0:1]
	s_mov_b32 s0, 0x652b82fe
	s_mov_b32 s1, 0x3ff71547
	v_mul_f64 v[4:5], |v[2:3]|, s[0:1]
	s_mov_b32 s0, 0xfefa39ef
	v_rndne_f64_e32 v[4:5], v[4:5]
	s_mov_b32 s1, 0xbfe62e42
	v_fma_f64 v[10:11], v[4:5], s[0:1], |v[2:3]|
	s_mov_b32 s0, 0x3b39803f
	s_mov_b32 s1, 0xbc7abc9e
	v_fmac_f64_e32 v[10:11], s[0:1], v[4:5]
	s_mov_b32 s0, 0x6a5dcb37
	v_mov_b32_e32 v15, 0x3e928af3
	s_mov_b32 s1, 0x3e5ade15
	v_fmac_f64_e32 v[14:15], s[0:1], v[10:11]
	v_mov_b32_e32 v16, 0x623fde64
	v_mov_b32_e32 v17, 0x3ec71dee
	v_fmac_f64_e32 v[16:17], v[10:11], v[14:15]
	v_mov_b32_e32 v14, 0x7c89e6b0
	v_mov_b32_e32 v15, 0x3efa0199
	;; [unrolled: 3-line block ×8, first 2 shown]
	v_fmac_f64_e32 v[14:15], v[10:11], v[16:17]
	v_fma_f64 v[14:15], v[10:11], v[14:15], 1.0
	s_mov_b32 s0, 0
	v_fma_f64 v[10:11], v[10:11], v[14:15], 1.0
	v_cvt_i32_f64_e32 v1, v[4:5]
	s_mov_b32 s1, 0x40900000
	v_ldexp_f64 v[4:5], v[10:11], v1
	v_mov_b32_e32 v1, 0x7ff00000
	v_cmp_ngt_f64_e64 s[0:1], |v[2:3]|, s[0:1]
	v_cmp_ngt_f64_e32 vcc, 0, v[2:3]
	v_add_f64 v[8:9], v[6:7], -v[8:9]
	v_cndmask_b32_e64 v5, v1, v5, s[0:1]
	v_cndmask_b32_e64 v4, 0, v4, s[0:1]
                                        ; implicit-def: $vgpr6_vgpr7
	s_and_saveexec_b64 s[0:1], vcc
	s_xor_b64 s[0:1], exec, s[0:1]
	s_cbranch_execz .LBB7_193
; %bb.192:
	s_mov_b32 s4, 0
	s_brev_b32 s5, 8
	v_mov_b32_e32 v1, 0x100
	v_cmp_lt_f64_e64 vcc, |v[2:3]|, s[4:5]
	v_mul_f64 v[8:9], v[8:9], 0.5
	v_mul_f64 v[4:5], v[4:5], v[8:9]
	v_cndmask_b32_e32 v1, 0, v1, vcc
	v_ldexp_f64 v[2:3], |v[2:3]|, v1
	v_rsq_f64_e32 v[6:7], v[2:3]
	v_mov_b32_e32 v1, 0xffffff80
	v_cndmask_b32_e32 v1, 0, v1, vcc
	v_mul_f64 v[8:9], v[2:3], v[6:7]
	v_mul_f64 v[6:7], v[6:7], 0.5
	v_fma_f64 v[10:11], -v[6:7], v[8:9], 0.5
	v_fmac_f64_e32 v[8:9], v[8:9], v[10:11]
	v_fma_f64 v[14:15], -v[8:9], v[8:9], v[2:3]
	v_fmac_f64_e32 v[6:7], v[6:7], v[10:11]
	v_fmac_f64_e32 v[8:9], v[14:15], v[6:7]
	v_fma_f64 v[10:11], -v[8:9], v[8:9], v[2:3]
	v_fmac_f64_e32 v[8:9], v[10:11], v[6:7]
	v_ldexp_f64 v[6:7], v[8:9], v1
	v_mov_b32_e32 v1, 0x260
	v_cmp_class_f64_e32 vcc, v[2:3], v1
	s_nop 1
	v_cndmask_b32_e32 v3, v7, v3, vcc
	v_cndmask_b32_e32 v2, v6, v2, vcc
	v_div_scale_f64 v[6:7], s[4:5], v[2:3], v[2:3], v[4:5]
	v_rcp_f64_e32 v[8:9], v[6:7]
	s_nop 0
	v_fma_f64 v[10:11], -v[6:7], v[8:9], 1.0
	v_fmac_f64_e32 v[8:9], v[8:9], v[10:11]
	v_fma_f64 v[10:11], -v[6:7], v[8:9], 1.0
	v_fmac_f64_e32 v[8:9], v[8:9], v[10:11]
	v_div_scale_f64 v[10:11], vcc, v[4:5], v[2:3], v[4:5]
	v_mul_f64 v[14:15], v[10:11], v[8:9]
	v_fma_f64 v[6:7], -v[6:7], v[14:15], v[10:11]
	s_nop 1
	v_div_fmas_f64 v[6:7], v[6:7], v[8:9], v[14:15]
	v_div_fixup_f64 v[6:7], v[6:7], v[2:3], v[4:5]
                                        ; implicit-def: $vgpr2_vgpr3
                                        ; implicit-def: $vgpr8_vgpr9
                                        ; implicit-def: $vgpr4_vgpr5
.LBB7_193:
	s_andn2_saveexec_b64 s[0:1], s[0:1]
	s_cbranch_execz .LBB7_195
; %bb.194:
	s_mov_b32 s4, 0
	s_brev_b32 s5, 8
	v_mov_b32_e32 v1, 0x100
	v_cmp_lt_f64_e64 vcc, |v[2:3]|, s[4:5]
	s_nop 1
	v_cndmask_b32_e32 v1, 0, v1, vcc
	v_ldexp_f64 v[2:3], |v[2:3]|, v1
	v_rsq_f64_e32 v[6:7], v[2:3]
	v_mov_b32_e32 v1, 0xffffff80
	v_cndmask_b32_e32 v1, 0, v1, vcc
	v_mul_f64 v[10:11], v[2:3], v[6:7]
	v_mul_f64 v[6:7], v[6:7], 0.5
	v_fma_f64 v[14:15], -v[6:7], v[10:11], 0.5
	v_fmac_f64_e32 v[10:11], v[10:11], v[14:15]
	v_fma_f64 v[16:17], -v[10:11], v[10:11], v[2:3]
	v_fmac_f64_e32 v[6:7], v[6:7], v[14:15]
	v_fmac_f64_e32 v[10:11], v[16:17], v[6:7]
	v_fma_f64 v[14:15], -v[10:11], v[10:11], v[2:3]
	v_fmac_f64_e32 v[10:11], v[14:15], v[6:7]
	v_ldexp_f64 v[6:7], v[10:11], v1
	v_mov_b32_e32 v1, 0x260
	v_cmp_class_f64_e32 vcc, v[2:3], v1
	s_nop 1
	v_cndmask_b32_e32 v3, v7, v3, vcc
	v_cndmask_b32_e32 v2, v6, v2, vcc
	v_mul_f64 v[6:7], v[8:9], -0.5
	v_mul_f64 v[4:5], v[4:5], v[6:7]
	v_div_scale_f64 v[6:7], s[4:5], v[2:3], v[2:3], v[4:5]
	v_rcp_f64_e32 v[8:9], v[6:7]
	s_nop 0
	v_fma_f64 v[10:11], -v[6:7], v[8:9], 1.0
	v_fmac_f64_e32 v[8:9], v[8:9], v[10:11]
	v_fma_f64 v[10:11], -v[6:7], v[8:9], 1.0
	v_fmac_f64_e32 v[8:9], v[8:9], v[10:11]
	v_div_scale_f64 v[10:11], vcc, v[4:5], v[2:3], v[4:5]
	v_mul_f64 v[14:15], v[10:11], v[8:9]
	v_fma_f64 v[6:7], -v[6:7], v[14:15], v[10:11]
	s_nop 1
	v_div_fmas_f64 v[6:7], v[6:7], v[8:9], v[14:15]
	v_div_fixup_f64 v[6:7], v[6:7], v[2:3], v[4:5]
.LBB7_195:
	s_or_b64 exec, exec, s[0:1]
.LBB7_196:
	s_or_b64 exec, exec, s[2:3]
	v_add_u32_e32 v12, 0x80, v12
	global_store_dwordx2 v0, v[6:7], s[16:17]
	s_or_b64 exec, exec, s[48:49]
	v_cmp_gt_i32_e32 vcc, s55, v12
	s_and_saveexec_b64 s[48:49], vcc
	s_cbranch_execz .LBB7_175
.LBB7_197:
	s_andn2_b64 vcc, exec, s[36:37]
	s_cbranch_vccnz .LBB7_203
; %bb.198:
	s_andn2_b64 vcc, exec, s[46:47]
	s_cbranch_vccnz .LBB7_204
; %bb.199:
	s_add_i32 s56, s56, 1
	s_cmp_eq_u32 s54, 2
	s_cbranch_scc1 .LBB7_205
; %bb.200:
	s_and_b32 s50, s56, 28
	s_mov_b32 s51, 0
	v_mov_b32_e32 v0, 0
	v_mov_b32_e32 v2, 0
	s_mov_b64 s[46:47], s[34:35]
	v_mov_b32_e32 v4, v12
.LBB7_201:                              ; =>This Inner Loop Header: Depth=1
	s_load_dwordx8 s[8:15], s[46:47], 0x4
	s_load_dwordx4 s[28:31], s[46:47], 0x24
	s_load_dwordx8 s[0:7], s[44:45], 0x0
	s_add_u32 s46, s46, 48
	s_addc_u32 s47, s47, 0
	s_waitcnt lgkmcnt(0)
	v_mul_hi_u32 v1, s9, v4
	v_add_u32_e32 v1, v4, v1
	v_lshrrev_b32_e32 v1, s10, v1
	v_mul_lo_u32 v3, v1, s8
	v_mul_hi_u32 v5, s12, v1
	v_sub_u32_e32 v3, v4, v3
	v_add_u32_e32 v4, v1, v5
	v_lshrrev_b32_e32 v4, s13, v4
	v_mul_lo_u32 v6, v4, s11
	v_mul_hi_u32 v7, s15, v4
	v_sub_u32_e32 v1, v1, v6
	v_add_u32_e32 v6, v4, v7
	v_mul_lo_u32 v5, v3, s1
	v_mul_lo_u32 v3, v3, s0
	;; [unrolled: 1-line block ×4, first 2 shown]
	v_lshrrev_b32_e32 v6, s28, v6
	v_add3_u32 v0, v3, v0, v1
	v_mul_hi_u32 v3, s30, v6
	v_add3_u32 v1, v5, v2, v7
	v_mul_lo_u32 v2, v6, s14
	v_add_u32_e32 v3, v6, v3
	v_sub_u32_e32 v2, v4, v2
	v_lshrrev_b32_e32 v4, s31, v3
	s_add_i32 s51, s51, 4
	v_mul_lo_u32 v3, v4, s29
	s_add_u32 s44, s44, 32
	v_sub_u32_e32 v3, v6, v3
	s_addc_u32 s45, s45, 0
	v_mul_lo_u32 v5, v2, s4
	v_mul_lo_u32 v2, v2, s5
	;; [unrolled: 1-line block ×4, first 2 shown]
	s_cmp_eq_u32 s50, s51
	v_add3_u32 v2, v2, v1, v3
	v_add3_u32 v0, v5, v0, v6
	s_cbranch_scc0 .LBB7_201
; %bb.202:
	v_mov_b32_e32 v1, v2
	s_branch .LBB7_206
.LBB7_203:
                                        ; implicit-def: $vgpr2
                                        ; implicit-def: $vgpr0
	s_branch .LBB7_210
.LBB7_204:
	v_mov_b32_e32 v2, 0
	v_mov_b32_e32 v0, 0
	s_branch .LBB7_209
.LBB7_205:
	v_mov_b32_e32 v0, 0
	s_mov_b32 s50, 0
	v_mov_b32_e32 v1, v0
                                        ; implicit-def: $vgpr2
	v_mov_b32_e32 v4, v12
.LBB7_206:
	s_and_b32 s4, s56, 3
	s_cmp_eq_u32 s4, 0
	s_cbranch_scc1 .LBB7_209
; %bb.207:
	s_lshl_b32 s0, s50, 3
	s_add_u32 s0, s34, s0
	s_addc_u32 s1, s35, 0
	s_add_u32 s0, s0, 0xc4
	s_addc_u32 s1, s1, 0
	s_mul_i32 s2, s50, 12
	s_add_u32 s2, s34, s2
	s_addc_u32 s3, s35, 0
.LBB7_208:                              ; =>This Inner Loop Header: Depth=1
	s_load_dwordx2 s[6:7], s[2:3], 0x4
	s_load_dword s5, s[2:3], 0xc
	s_load_dwordx2 s[8:9], s[0:1], 0x0
	v_mov_b32_e32 v2, v1
	s_add_u32 s2, s2, 12
	s_waitcnt lgkmcnt(0)
	v_mul_hi_u32 v1, s7, v4
	v_add_u32_e32 v1, v4, v1
	v_lshrrev_b32_e32 v1, s5, v1
	s_addc_u32 s3, s3, 0
	v_mul_lo_u32 v3, v1, s6
	s_add_u32 s0, s0, 8
	v_sub_u32_e32 v5, v4, v3
	s_addc_u32 s1, s1, 0
	s_add_i32 s4, s4, -1
	v_mov_b32_e32 v4, v1
	v_mad_u64_u32 v[2:3], s[6:7], v5, s9, v[2:3]
	v_mad_u64_u32 v[0:1], s[6:7], v5, s8, v[0:1]
	s_cmp_lg_u32 s4, 0
	v_mov_b32_e32 v1, v2
	s_cbranch_scc1 .LBB7_208
.LBB7_209:
	s_cbranch_execnz .LBB7_212
.LBB7_210:
	s_waitcnt lgkmcnt(0)
	v_mul_hi_u32 v0, s25, v12
	v_add_u32_e32 v0, v12, v0
	v_lshrrev_b32_e32 v1, s26, v0
	v_mul_lo_u32 v0, v1, s24
	v_sub_u32_e32 v0, v12, v0
	v_mul_lo_u32 v2, v0, s21
	s_andn2_b64 vcc, exec, s[42:43]
	v_mul_lo_u32 v0, v0, s20
	s_cbranch_vccnz .LBB7_212
; %bb.211:
	v_mul_hi_u32 v3, s40, v1
	v_add_u32_e32 v3, v1, v3
	v_lshrrev_b32_e32 v3, s41, v3
	v_mul_lo_u32 v3, v3, s27
	v_sub_u32_e32 v3, v1, v3
	v_mad_u64_u32 v[0:1], s[0:1], v3, s22, v[0:1]
	v_mad_u64_u32 v[2:3], s[0:1], v3, s23, v[2:3]
.LBB7_212:
	s_waitcnt lgkmcnt(0)
	global_load_dwordx2 v[2:3], v2, s[18:19]
	s_mov_b32 s0, 0
	s_mov_b32 s1, 0x40200000
                                        ; implicit-def: $vgpr6_vgpr7
	s_waitcnt vmcnt(0)
	v_cmp_le_f64_e64 s[0:1], |v[2:3]|, s[0:1]
	s_and_saveexec_b64 s[2:3], s[0:1]
	s_xor_b64 s[0:1], exec, s[2:3]
	s_cbranch_execz .LBB7_218
; %bb.213:
	s_mov_b32 s2, 0xc3c4014
	v_fma_f64 v[4:5], |v[2:3]|, 0.5, -2.0
	v_mov_b32_e32 v6, 0xc38a0576
	v_mov_b32_e32 v7, 0xbc7857d0
	s_mov_b32 s3, 0x3c499f2a
	v_fmac_f64_e32 v[6:7], s[2:3], v[4:5]
	v_mov_b32_e32 v8, 0xc3c4014
	v_mov_b32_e32 v9, 0xbc499f2a
	s_mov_b32 s2, 0xe593bfac
	v_fmac_f64_e32 v[8:9], v[4:5], v[6:7]
	s_mov_b32 s3, 0x3ca663e3
	v_add_f64 v[8:9], v[8:9], s[2:3]
	s_mov_b32 s2, 0x7e0d1573
	v_fma_f64 v[6:7], v[4:5], v[8:9], -v[6:7]
	s_mov_b32 s3, 0xbcd3eaaa
	v_add_f64 v[6:7], v[6:7], s[2:3]
	s_mov_b32 s2, 0x615290c
	v_fma_f64 v[8:9], v[4:5], v[6:7], -v[8:9]
	s_mov_b32 s3, 0x3d011d7f
	v_add_f64 v[8:9], v[8:9], s[2:3]
	s_mov_b32 s2, 0x1c8f0b3b
	v_fma_f64 v[6:7], v[4:5], v[8:9], -v[6:7]
	s_mov_b32 s3, 0xbd2c628e
	v_add_f64 v[6:7], v[6:7], s[2:3]
	s_mov_b32 s2, 0x4779d955
	v_fma_f64 v[8:9], v[4:5], v[6:7], -v[8:9]
	s_mov_b32 s3, 0x3d56af78
	v_add_f64 v[8:9], v[8:9], s[2:3]
	s_mov_b32 s2, 0x5fb70366
	v_fma_f64 v[6:7], v[4:5], v[8:9], -v[6:7]
	s_mov_b32 s3, 0xbd817383
	v_add_f64 v[6:7], v[6:7], s[2:3]
	s_mov_b32 s2, 0xb21d3154
	v_fma_f64 v[8:9], v[4:5], v[6:7], -v[8:9]
	s_mov_b32 s3, 0x3da9cee2
	v_add_f64 v[8:9], v[8:9], s[2:3]
	s_mov_b32 s2, 0x97eb07de
	v_fma_f64 v[6:7], v[4:5], v[8:9], -v[6:7]
	s_mov_b32 s3, 0xbdd25103
	v_add_f64 v[6:7], v[6:7], s[2:3]
	s_mov_b32 s2, 0xb43fdf6c
	v_fma_f64 v[8:9], v[4:5], v[6:7], -v[8:9]
	s_mov_b32 s3, 0x3df8ea34
	v_add_f64 v[8:9], v[8:9], s[2:3]
	s_mov_b32 s2, 0x28ea67e6
	v_fma_f64 v[6:7], v[4:5], v[8:9], -v[6:7]
	s_mov_b32 s3, 0xbe20361b
	v_add_f64 v[6:7], v[6:7], s[2:3]
	s_mov_b32 s2, 0x2395010
	v_fma_f64 v[8:9], v[4:5], v[6:7], -v[8:9]
	s_mov_b32 s3, 0x3e44258e
	v_add_f64 v[8:9], v[8:9], s[2:3]
	s_mov_b32 s2, 0x24b8c3e8
	v_fma_f64 v[6:7], v[4:5], v[8:9], -v[6:7]
	s_mov_b32 s3, 0xbe67dd3e
	v_add_f64 v[6:7], v[6:7], s[2:3]
	s_mov_b32 s2, 0xb347d108
	v_fma_f64 v[8:9], v[4:5], v[6:7], -v[8:9]
	s_mov_b32 s3, 0x3e8ae344
	v_add_f64 v[8:9], v[8:9], s[2:3]
	s_mov_b32 s2, 0x8363992a
	v_fma_f64 v[6:7], v[4:5], v[8:9], -v[6:7]
	s_mov_b32 s3, 0xbeacc079
	v_add_f64 v[6:7], v[6:7], s[2:3]
	s_mov_b32 s2, 0xd511afc5
	v_fma_f64 v[8:9], v[4:5], v[6:7], -v[8:9]
	s_mov_b32 s3, 0x3ecd1c4e
	v_add_f64 v[8:9], v[8:9], s[2:3]
	s_mov_b32 s2, 0xb8debbcf
	v_fma_f64 v[6:7], v[4:5], v[8:9], -v[6:7]
	s_mov_b32 s3, 0xbeebd5f9
	v_add_f64 v[6:7], v[6:7], s[2:3]
	s_mov_b32 s2, 0x42c70d0b
	v_fma_f64 v[8:9], v[4:5], v[6:7], -v[8:9]
	s_mov_b32 s3, 0x3f0911b5
	v_add_f64 v[8:9], v[8:9], s[2:3]
	s_mov_b32 s2, 0xd3d694fe
	v_fma_f64 v[6:7], v[4:5], v[8:9], -v[6:7]
	s_mov_b32 s3, 0xbf2533ca
	v_add_f64 v[6:7], v[6:7], s[2:3]
	s_mov_b32 s2, 0xb6c6df7d
	v_fma_f64 v[8:9], v[4:5], v[6:7], -v[8:9]
	s_mov_b32 s3, 0x3f40c95d
	v_add_f64 v[8:9], v[8:9], s[2:3]
	s_mov_b32 s2, 0xb3cd4a4
	v_fma_f64 v[6:7], v[4:5], v[8:9], -v[6:7]
	s_mov_b32 s3, 0xbf58cc62
	v_add_f64 v[6:7], v[6:7], s[2:3]
	s_mov_b32 s2, 0x49d3a1b4
	v_fma_f64 v[8:9], v[4:5], v[6:7], -v[8:9]
	s_mov_b32 s3, 0x3f710653
	v_add_f64 v[8:9], v[8:9], s[2:3]
	s_mov_b32 s2, 0x7913a26a
	v_fma_f64 v[6:7], v[4:5], v[8:9], -v[6:7]
	s_mov_b32 s3, 0xbf85a29f
	v_add_f64 v[6:7], v[6:7], s[2:3]
	s_mov_b32 s2, 0xe7bb2349
	v_fma_f64 v[8:9], v[4:5], v[6:7], -v[8:9]
	s_mov_b32 s3, 0x3f9951e3
	v_add_f64 v[8:9], v[8:9], s[2:3]
	s_mov_b32 s2, 0x537c9ebc
	v_fma_f64 v[6:7], v[4:5], v[8:9], -v[6:7]
	s_mov_b32 s3, 0xbfab1bbc
	v_add_f64 v[6:7], v[6:7], s[2:3]
	s_mov_b32 s2, 0xd536f53c
	v_fma_f64 v[8:9], v[4:5], v[6:7], -v[8:9]
	s_mov_b32 s3, 0x3fba46da
	v_add_f64 v[8:9], v[8:9], s[2:3]
	s_mov_b32 s2, 0x469192e
	v_fma_f64 v[6:7], v[4:5], v[8:9], -v[6:7]
	s_mov_b32 s3, 0xbfc694d1
	v_add_f64 v[6:7], v[6:7], s[2:3]
	s_mov_b32 s2, 0x724a7ffa
	v_fma_f64 v[4:5], v[4:5], v[6:7], -v[8:9]
	s_mov_b32 s3, 0x3fd02a63
	v_add_f64 v[4:5], v[4:5], s[2:3]
	s_mov_b32 s2, 0x652b82fe
	s_mov_b32 s3, 0x3ff71547
	v_mul_f64 v[6:7], |v[2:3]|, s[2:3]
	s_mov_b32 s2, 0xfefa39ef
	v_rndne_f64_e32 v[6:7], v[6:7]
	s_mov_b32 s3, 0xbfe62e42
	v_add_f64 v[4:5], v[4:5], -v[8:9]
	v_fma_f64 v[8:9], v[6:7], s[2:3], |v[2:3]|
	s_mov_b32 s2, 0x3b39803f
	s_mov_b32 s3, 0xbc7abc9e
	v_fmac_f64_e32 v[8:9], s[2:3], v[6:7]
	s_mov_b32 s2, 0x6a5dcb37
	v_mov_b32_e32 v10, 0xfca7ab0c
	v_mov_b32_e32 v11, 0x3e928af3
	s_mov_b32 s3, 0x3e5ade15
	v_fmac_f64_e32 v[10:11], s[2:3], v[8:9]
	v_mov_b32_e32 v12, 0x623fde64
	v_mov_b32_e32 v13, 0x3ec71dee
	v_fmac_f64_e32 v[12:13], v[8:9], v[10:11]
	v_mov_b32_e32 v10, 0x7c89e6b0
	v_mov_b32_e32 v11, 0x3efa0199
	;; [unrolled: 3-line block ×8, first 2 shown]
	v_fmac_f64_e32 v[10:11], v[8:9], v[12:13]
	v_mul_f64 v[4:5], v[4:5], 0.5
	v_fma_f64 v[10:11], v[8:9], v[10:11], 1.0
	v_cmp_ngt_f64_e32 vcc, 0, v[2:3]
	v_mul_f64 v[4:5], |v[2:3]|, v[4:5]
	v_fma_f64 v[8:9], v[8:9], v[10:11], 1.0
	v_cvt_i32_f64_e32 v1, v[6:7]
                                        ; implicit-def: $vgpr6_vgpr7
	s_and_saveexec_b64 s[2:3], vcc
	s_xor_b64 s[2:3], exec, s[2:3]
; %bb.214:
	s_mov_b32 s4, 0
	s_mov_b32 s5, 0x40900000
	v_ldexp_f64 v[6:7], v[8:9], v1
	v_mov_b32_e32 v1, 0x7ff00000
	v_cmp_ngt_f64_e64 vcc, |v[2:3]|, s[4:5]
                                        ; implicit-def: $vgpr8_vgpr9
	s_nop 1
	v_cndmask_b32_e32 v3, v1, v7, vcc
	v_cndmask_b32_e32 v2, 0, v6, vcc
	v_mul_f64 v[6:7], v[2:3], v[4:5]
                                        ; implicit-def: $vgpr1
                                        ; implicit-def: $vgpr2_vgpr3
                                        ; implicit-def: $vgpr4_vgpr5
; %bb.215:
	s_andn2_saveexec_b64 s[2:3], s[2:3]
; %bb.216:
	s_mov_b32 s4, 0
	s_mov_b32 s5, 0x40900000
	v_ldexp_f64 v[6:7], -v[8:9], v1
	v_mov_b32_e32 v1, 0xfff00000
	v_cmp_ngt_f64_e64 vcc, |v[2:3]|, s[4:5]
	s_nop 1
	v_cndmask_b32_e32 v3, v1, v7, vcc
	v_cndmask_b32_e32 v2, 0, v6, vcc
	v_mul_f64 v[6:7], v[2:3], v[4:5]
; %bb.217:
	s_or_b64 exec, exec, s[2:3]
                                        ; implicit-def: $vgpr2_vgpr3
.LBB7_218:
	s_andn2_saveexec_b64 s[2:3], s[0:1]
	s_cbranch_execz .LBB7_224
; %bb.219:
	s_mov_b32 s0, 0
	v_and_b32_e32 v5, 0x7fffffff, v3
	v_mov_b32_e32 v4, v2
	s_mov_b32 s1, 0x40400000
	v_div_scale_f64 v[6:7], s[4:5], v[4:5], v[4:5], s[0:1]
	v_rcp_f64_e32 v[8:9], v[6:7]
	v_div_scale_f64 v[4:5], vcc, s[0:1], v[4:5], s[0:1]
	v_mov_b32_e32 v12, 0xfca7ab0c
	v_fma_f64 v[10:11], -v[6:7], v[8:9], 1.0
	v_fmac_f64_e32 v[8:9], v[8:9], v[10:11]
	v_fma_f64 v[10:11], -v[6:7], v[8:9], 1.0
	v_fmac_f64_e32 v[8:9], v[8:9], v[10:11]
	v_mul_f64 v[10:11], v[4:5], v[8:9]
	v_fma_f64 v[4:5], -v[6:7], v[10:11], v[4:5]
	v_div_fmas_f64 v[4:5], v[4:5], v[8:9], v[10:11]
	v_div_fixup_f64 v[4:5], v[4:5], |v[2:3]|, s[0:1]
	s_mov_b32 s0, 0xb352e8e6
	v_add_f64 v[4:5], v[4:5], -2.0
	v_mov_b32_e32 v6, 0xea87b950
	v_mov_b32_e32 v7, 0x3c545b8a
	s_mov_b32 s1, 0x3c61556d
	v_fmac_f64_e32 v[6:7], s[0:1], v[4:5]
	v_mov_b32_e32 v8, 0xb352e8e6
	v_mov_b32_e32 v9, 0xbc61556d
	s_mov_b32 s0, 0xb2532277
	v_fmac_f64_e32 v[8:9], v[4:5], v[6:7]
	s_mov_b32 s1, 0xbc8acea3
	v_add_f64 v[8:9], v[8:9], s[0:1]
	s_mov_b32 s0, 0x9c773320
	v_fma_f64 v[6:7], v[4:5], v[8:9], -v[6:7]
	s_mov_b32 s1, 0xbc82806c
	v_add_f64 v[6:7], v[6:7], s[0:1]
	s_mov_b32 s0, 0xfceb588a
	v_fma_f64 v[8:9], v[4:5], v[6:7], -v[8:9]
	;; [unrolled: 4-line block ×22, first 2 shown]
	s_mov_b32 s1, 0x3fe8ea18
	v_add_f64 v[6:7], v[4:5], s[0:1]
	s_mov_b32 s0, 0x652b82fe
	s_mov_b32 s1, 0x3ff71547
	v_mul_f64 v[4:5], |v[2:3]|, s[0:1]
	s_mov_b32 s0, 0xfefa39ef
	v_rndne_f64_e32 v[4:5], v[4:5]
	s_mov_b32 s1, 0xbfe62e42
	v_fma_f64 v[10:11], v[4:5], s[0:1], |v[2:3]|
	s_mov_b32 s0, 0x3b39803f
	s_mov_b32 s1, 0xbc7abc9e
	v_fmac_f64_e32 v[10:11], s[0:1], v[4:5]
	s_mov_b32 s0, 0x6a5dcb37
	v_mov_b32_e32 v13, 0x3e928af3
	s_mov_b32 s1, 0x3e5ade15
	v_fmac_f64_e32 v[12:13], s[0:1], v[10:11]
	v_mov_b32_e32 v14, 0x623fde64
	v_mov_b32_e32 v15, 0x3ec71dee
	v_fmac_f64_e32 v[14:15], v[10:11], v[12:13]
	v_mov_b32_e32 v12, 0x7c89e6b0
	v_mov_b32_e32 v13, 0x3efa0199
	;; [unrolled: 3-line block ×8, first 2 shown]
	v_fmac_f64_e32 v[12:13], v[10:11], v[14:15]
	v_fma_f64 v[12:13], v[10:11], v[12:13], 1.0
	s_mov_b32 s0, 0
	v_fma_f64 v[10:11], v[10:11], v[12:13], 1.0
	v_cvt_i32_f64_e32 v1, v[4:5]
	s_mov_b32 s1, 0x40900000
	v_ldexp_f64 v[4:5], v[10:11], v1
	v_mov_b32_e32 v1, 0x7ff00000
	v_cmp_ngt_f64_e64 s[0:1], |v[2:3]|, s[0:1]
	v_cmp_ngt_f64_e32 vcc, 0, v[2:3]
	v_add_f64 v[8:9], v[6:7], -v[8:9]
	v_cndmask_b32_e64 v5, v1, v5, s[0:1]
	v_cndmask_b32_e64 v4, 0, v4, s[0:1]
                                        ; implicit-def: $vgpr6_vgpr7
	s_and_saveexec_b64 s[0:1], vcc
	s_xor_b64 s[0:1], exec, s[0:1]
	s_cbranch_execz .LBB7_221
; %bb.220:
	s_mov_b32 s4, 0
	s_brev_b32 s5, 8
	v_mov_b32_e32 v1, 0x100
	v_cmp_lt_f64_e64 vcc, |v[2:3]|, s[4:5]
	v_mul_f64 v[8:9], v[8:9], 0.5
	v_mul_f64 v[4:5], v[4:5], v[8:9]
	v_cndmask_b32_e32 v1, 0, v1, vcc
	v_ldexp_f64 v[2:3], |v[2:3]|, v1
	v_rsq_f64_e32 v[6:7], v[2:3]
	v_mov_b32_e32 v1, 0xffffff80
	v_cndmask_b32_e32 v1, 0, v1, vcc
	v_mul_f64 v[8:9], v[2:3], v[6:7]
	v_mul_f64 v[6:7], v[6:7], 0.5
	v_fma_f64 v[10:11], -v[6:7], v[8:9], 0.5
	v_fmac_f64_e32 v[8:9], v[8:9], v[10:11]
	v_fma_f64 v[12:13], -v[8:9], v[8:9], v[2:3]
	v_fmac_f64_e32 v[6:7], v[6:7], v[10:11]
	v_fmac_f64_e32 v[8:9], v[12:13], v[6:7]
	v_fma_f64 v[10:11], -v[8:9], v[8:9], v[2:3]
	v_fmac_f64_e32 v[8:9], v[10:11], v[6:7]
	v_ldexp_f64 v[6:7], v[8:9], v1
	v_mov_b32_e32 v1, 0x260
	v_cmp_class_f64_e32 vcc, v[2:3], v1
	s_nop 1
	v_cndmask_b32_e32 v3, v7, v3, vcc
	v_cndmask_b32_e32 v2, v6, v2, vcc
	v_div_scale_f64 v[6:7], s[4:5], v[2:3], v[2:3], v[4:5]
	v_rcp_f64_e32 v[8:9], v[6:7]
	s_nop 0
	v_fma_f64 v[10:11], -v[6:7], v[8:9], 1.0
	v_fmac_f64_e32 v[8:9], v[8:9], v[10:11]
	v_fma_f64 v[10:11], -v[6:7], v[8:9], 1.0
	v_fmac_f64_e32 v[8:9], v[8:9], v[10:11]
	v_div_scale_f64 v[10:11], vcc, v[4:5], v[2:3], v[4:5]
	v_mul_f64 v[12:13], v[10:11], v[8:9]
	v_fma_f64 v[6:7], -v[6:7], v[12:13], v[10:11]
	s_nop 1
	v_div_fmas_f64 v[6:7], v[6:7], v[8:9], v[12:13]
	v_div_fixup_f64 v[6:7], v[6:7], v[2:3], v[4:5]
                                        ; implicit-def: $vgpr2_vgpr3
                                        ; implicit-def: $vgpr8_vgpr9
                                        ; implicit-def: $vgpr4_vgpr5
.LBB7_221:
	s_andn2_saveexec_b64 s[0:1], s[0:1]
	s_cbranch_execz .LBB7_223
; %bb.222:
	s_mov_b32 s4, 0
	s_brev_b32 s5, 8
	v_mov_b32_e32 v1, 0x100
	v_cmp_lt_f64_e64 vcc, |v[2:3]|, s[4:5]
	s_nop 1
	v_cndmask_b32_e32 v1, 0, v1, vcc
	v_ldexp_f64 v[2:3], |v[2:3]|, v1
	v_rsq_f64_e32 v[6:7], v[2:3]
	v_mov_b32_e32 v1, 0xffffff80
	v_cndmask_b32_e32 v1, 0, v1, vcc
	v_mul_f64 v[10:11], v[2:3], v[6:7]
	v_mul_f64 v[6:7], v[6:7], 0.5
	v_fma_f64 v[12:13], -v[6:7], v[10:11], 0.5
	v_fmac_f64_e32 v[10:11], v[10:11], v[12:13]
	v_fma_f64 v[14:15], -v[10:11], v[10:11], v[2:3]
	v_fmac_f64_e32 v[6:7], v[6:7], v[12:13]
	v_fmac_f64_e32 v[10:11], v[14:15], v[6:7]
	v_fma_f64 v[12:13], -v[10:11], v[10:11], v[2:3]
	v_fmac_f64_e32 v[10:11], v[12:13], v[6:7]
	v_ldexp_f64 v[6:7], v[10:11], v1
	v_mov_b32_e32 v1, 0x260
	v_cmp_class_f64_e32 vcc, v[2:3], v1
	s_nop 1
	v_cndmask_b32_e32 v3, v7, v3, vcc
	v_cndmask_b32_e32 v2, v6, v2, vcc
	v_mul_f64 v[6:7], v[8:9], -0.5
	v_mul_f64 v[4:5], v[4:5], v[6:7]
	v_div_scale_f64 v[6:7], s[4:5], v[2:3], v[2:3], v[4:5]
	v_rcp_f64_e32 v[8:9], v[6:7]
	s_nop 0
	v_fma_f64 v[10:11], -v[6:7], v[8:9], 1.0
	v_fmac_f64_e32 v[8:9], v[8:9], v[10:11]
	v_fma_f64 v[10:11], -v[6:7], v[8:9], 1.0
	v_fmac_f64_e32 v[8:9], v[8:9], v[10:11]
	v_div_scale_f64 v[10:11], vcc, v[4:5], v[2:3], v[4:5]
	v_mul_f64 v[12:13], v[10:11], v[8:9]
	v_fma_f64 v[6:7], -v[6:7], v[12:13], v[10:11]
	s_nop 1
	v_div_fmas_f64 v[6:7], v[6:7], v[8:9], v[12:13]
	v_div_fixup_f64 v[6:7], v[6:7], v[2:3], v[4:5]
.LBB7_223:
	s_or_b64 exec, exec, s[0:1]
.LBB7_224:
	s_or_b64 exec, exec, s[2:3]
	global_store_dwordx2 v0, v[6:7], s[16:17]
	s_or_b64 exec, exec, s[48:49]
                                        ; implicit-def: $vgpr16
                                        ; implicit-def: $vgpr12
	s_andn2_saveexec_b64 s[0:1], s[38:39]
	s_cbranch_execz .LBB7_176
	s_branch .LBB7_9
	.section	.rodata,"a",@progbits
	.p2align	6, 0x0
	.amdhsa_kernel _ZN2at6native32elementwise_kernel_manual_unrollILi128ELi4EZNS0_22gpu_kernel_impl_nocastIZZZNS0_12_GLOBAL__N_130modified_bessel_i1_kernel_cudaERNS_18TensorIteratorBaseEENKUlvE_clEvENKUlvE_clEvEUldE_EEvS5_RKT_EUlibE_EEviT1_
		.amdhsa_group_segment_fixed_size 0
		.amdhsa_private_segment_fixed_size 0
		.amdhsa_kernarg_size 360
		.amdhsa_user_sgpr_count 2
		.amdhsa_user_sgpr_dispatch_ptr 0
		.amdhsa_user_sgpr_queue_ptr 0
		.amdhsa_user_sgpr_kernarg_segment_ptr 1
		.amdhsa_user_sgpr_dispatch_id 0
		.amdhsa_user_sgpr_kernarg_preload_length 0
		.amdhsa_user_sgpr_kernarg_preload_offset 0
		.amdhsa_user_sgpr_private_segment_size 0
		.amdhsa_uses_dynamic_stack 0
		.amdhsa_enable_private_segment 0
		.amdhsa_system_sgpr_workgroup_id_x 1
		.amdhsa_system_sgpr_workgroup_id_y 0
		.amdhsa_system_sgpr_workgroup_id_z 0
		.amdhsa_system_sgpr_workgroup_info 0
		.amdhsa_system_vgpr_workitem_id 0
		.amdhsa_next_free_vgpr 28
		.amdhsa_next_free_sgpr 60
		.amdhsa_accum_offset 28
		.amdhsa_reserve_vcc 1
		.amdhsa_float_round_mode_32 0
		.amdhsa_float_round_mode_16_64 0
		.amdhsa_float_denorm_mode_32 3
		.amdhsa_float_denorm_mode_16_64 3
		.amdhsa_dx10_clamp 1
		.amdhsa_ieee_mode 1
		.amdhsa_fp16_overflow 0
		.amdhsa_tg_split 0
		.amdhsa_exception_fp_ieee_invalid_op 0
		.amdhsa_exception_fp_denorm_src 0
		.amdhsa_exception_fp_ieee_div_zero 0
		.amdhsa_exception_fp_ieee_overflow 0
		.amdhsa_exception_fp_ieee_underflow 0
		.amdhsa_exception_fp_ieee_inexact 0
		.amdhsa_exception_int_div_zero 0
	.end_amdhsa_kernel
	.section	.text._ZN2at6native32elementwise_kernel_manual_unrollILi128ELi4EZNS0_22gpu_kernel_impl_nocastIZZZNS0_12_GLOBAL__N_130modified_bessel_i1_kernel_cudaERNS_18TensorIteratorBaseEENKUlvE_clEvENKUlvE_clEvEUldE_EEvS5_RKT_EUlibE_EEviT1_,"axG",@progbits,_ZN2at6native32elementwise_kernel_manual_unrollILi128ELi4EZNS0_22gpu_kernel_impl_nocastIZZZNS0_12_GLOBAL__N_130modified_bessel_i1_kernel_cudaERNS_18TensorIteratorBaseEENKUlvE_clEvENKUlvE_clEvEUldE_EEvS5_RKT_EUlibE_EEviT1_,comdat
.Lfunc_end7:
	.size	_ZN2at6native32elementwise_kernel_manual_unrollILi128ELi4EZNS0_22gpu_kernel_impl_nocastIZZZNS0_12_GLOBAL__N_130modified_bessel_i1_kernel_cudaERNS_18TensorIteratorBaseEENKUlvE_clEvENKUlvE_clEvEUldE_EEvS5_RKT_EUlibE_EEviT1_, .Lfunc_end7-_ZN2at6native32elementwise_kernel_manual_unrollILi128ELi4EZNS0_22gpu_kernel_impl_nocastIZZZNS0_12_GLOBAL__N_130modified_bessel_i1_kernel_cudaERNS_18TensorIteratorBaseEENKUlvE_clEvENKUlvE_clEvEUldE_EEvS5_RKT_EUlibE_EEviT1_
                                        ; -- End function
	.set _ZN2at6native32elementwise_kernel_manual_unrollILi128ELi4EZNS0_22gpu_kernel_impl_nocastIZZZNS0_12_GLOBAL__N_130modified_bessel_i1_kernel_cudaERNS_18TensorIteratorBaseEENKUlvE_clEvENKUlvE_clEvEUldE_EEvS5_RKT_EUlibE_EEviT1_.num_vgpr, 28
	.set _ZN2at6native32elementwise_kernel_manual_unrollILi128ELi4EZNS0_22gpu_kernel_impl_nocastIZZZNS0_12_GLOBAL__N_130modified_bessel_i1_kernel_cudaERNS_18TensorIteratorBaseEENKUlvE_clEvENKUlvE_clEvEUldE_EEvS5_RKT_EUlibE_EEviT1_.num_agpr, 0
	.set _ZN2at6native32elementwise_kernel_manual_unrollILi128ELi4EZNS0_22gpu_kernel_impl_nocastIZZZNS0_12_GLOBAL__N_130modified_bessel_i1_kernel_cudaERNS_18TensorIteratorBaseEENKUlvE_clEvENKUlvE_clEvEUldE_EEvS5_RKT_EUlibE_EEviT1_.numbered_sgpr, 60
	.set _ZN2at6native32elementwise_kernel_manual_unrollILi128ELi4EZNS0_22gpu_kernel_impl_nocastIZZZNS0_12_GLOBAL__N_130modified_bessel_i1_kernel_cudaERNS_18TensorIteratorBaseEENKUlvE_clEvENKUlvE_clEvEUldE_EEvS5_RKT_EUlibE_EEviT1_.num_named_barrier, 0
	.set _ZN2at6native32elementwise_kernel_manual_unrollILi128ELi4EZNS0_22gpu_kernel_impl_nocastIZZZNS0_12_GLOBAL__N_130modified_bessel_i1_kernel_cudaERNS_18TensorIteratorBaseEENKUlvE_clEvENKUlvE_clEvEUldE_EEvS5_RKT_EUlibE_EEviT1_.private_seg_size, 0
	.set _ZN2at6native32elementwise_kernel_manual_unrollILi128ELi4EZNS0_22gpu_kernel_impl_nocastIZZZNS0_12_GLOBAL__N_130modified_bessel_i1_kernel_cudaERNS_18TensorIteratorBaseEENKUlvE_clEvENKUlvE_clEvEUldE_EEvS5_RKT_EUlibE_EEviT1_.uses_vcc, 1
	.set _ZN2at6native32elementwise_kernel_manual_unrollILi128ELi4EZNS0_22gpu_kernel_impl_nocastIZZZNS0_12_GLOBAL__N_130modified_bessel_i1_kernel_cudaERNS_18TensorIteratorBaseEENKUlvE_clEvENKUlvE_clEvEUldE_EEvS5_RKT_EUlibE_EEviT1_.uses_flat_scratch, 0
	.set _ZN2at6native32elementwise_kernel_manual_unrollILi128ELi4EZNS0_22gpu_kernel_impl_nocastIZZZNS0_12_GLOBAL__N_130modified_bessel_i1_kernel_cudaERNS_18TensorIteratorBaseEENKUlvE_clEvENKUlvE_clEvEUldE_EEvS5_RKT_EUlibE_EEviT1_.has_dyn_sized_stack, 0
	.set _ZN2at6native32elementwise_kernel_manual_unrollILi128ELi4EZNS0_22gpu_kernel_impl_nocastIZZZNS0_12_GLOBAL__N_130modified_bessel_i1_kernel_cudaERNS_18TensorIteratorBaseEENKUlvE_clEvENKUlvE_clEvEUldE_EEvS5_RKT_EUlibE_EEviT1_.has_recursion, 0
	.set _ZN2at6native32elementwise_kernel_manual_unrollILi128ELi4EZNS0_22gpu_kernel_impl_nocastIZZZNS0_12_GLOBAL__N_130modified_bessel_i1_kernel_cudaERNS_18TensorIteratorBaseEENKUlvE_clEvENKUlvE_clEvEUldE_EEvS5_RKT_EUlibE_EEviT1_.has_indirect_call, 0
	.section	.AMDGPU.csdata,"",@progbits
; Kernel info:
; codeLenInByte = 30992
; TotalNumSgprs: 66
; NumVgprs: 28
; NumAgprs: 0
; TotalNumVgprs: 28
; ScratchSize: 0
; MemoryBound: 0
; FloatMode: 240
; IeeeMode: 1
; LDSByteSize: 0 bytes/workgroup (compile time only)
; SGPRBlocks: 8
; VGPRBlocks: 3
; NumSGPRsForWavesPerEU: 66
; NumVGPRsForWavesPerEU: 28
; AccumOffset: 28
; Occupancy: 8
; WaveLimiterHint : 1
; COMPUTE_PGM_RSRC2:SCRATCH_EN: 0
; COMPUTE_PGM_RSRC2:USER_SGPR: 2
; COMPUTE_PGM_RSRC2:TRAP_HANDLER: 0
; COMPUTE_PGM_RSRC2:TGID_X_EN: 1
; COMPUTE_PGM_RSRC2:TGID_Y_EN: 0
; COMPUTE_PGM_RSRC2:TGID_Z_EN: 0
; COMPUTE_PGM_RSRC2:TIDIG_COMP_CNT: 0
; COMPUTE_PGM_RSRC3_GFX90A:ACCUM_OFFSET: 6
; COMPUTE_PGM_RSRC3_GFX90A:TG_SPLIT: 0
	.section	.text._ZN2at6native32elementwise_kernel_manual_unrollILi128ELi4EZNS0_15gpu_kernel_implIZZZNS0_12_GLOBAL__N_130modified_bessel_i1_kernel_cudaERNS_18TensorIteratorBaseEENKUlvE_clEvENKUlvE_clEvEUldE_EEvS5_RKT_EUlibE_EEviT1_,"axG",@progbits,_ZN2at6native32elementwise_kernel_manual_unrollILi128ELi4EZNS0_15gpu_kernel_implIZZZNS0_12_GLOBAL__N_130modified_bessel_i1_kernel_cudaERNS_18TensorIteratorBaseEENKUlvE_clEvENKUlvE_clEvEUldE_EEvS5_RKT_EUlibE_EEviT1_,comdat
	.globl	_ZN2at6native32elementwise_kernel_manual_unrollILi128ELi4EZNS0_15gpu_kernel_implIZZZNS0_12_GLOBAL__N_130modified_bessel_i1_kernel_cudaERNS_18TensorIteratorBaseEENKUlvE_clEvENKUlvE_clEvEUldE_EEvS5_RKT_EUlibE_EEviT1_ ; -- Begin function _ZN2at6native32elementwise_kernel_manual_unrollILi128ELi4EZNS0_15gpu_kernel_implIZZZNS0_12_GLOBAL__N_130modified_bessel_i1_kernel_cudaERNS_18TensorIteratorBaseEENKUlvE_clEvENKUlvE_clEvEUldE_EEvS5_RKT_EUlibE_EEviT1_
	.p2align	8
	.type	_ZN2at6native32elementwise_kernel_manual_unrollILi128ELi4EZNS0_15gpu_kernel_implIZZZNS0_12_GLOBAL__N_130modified_bessel_i1_kernel_cudaERNS_18TensorIteratorBaseEENKUlvE_clEvENKUlvE_clEvEUldE_EEvS5_RKT_EUlibE_EEviT1_,@function
_ZN2at6native32elementwise_kernel_manual_unrollILi128ELi4EZNS0_15gpu_kernel_implIZZZNS0_12_GLOBAL__N_130modified_bessel_i1_kernel_cudaERNS_18TensorIteratorBaseEENKUlvE_clEvENKUlvE_clEvEUldE_EEvS5_RKT_EUlibE_EEviT1_: ; @_ZN2at6native32elementwise_kernel_manual_unrollILi128ELi4EZNS0_15gpu_kernel_implIZZZNS0_12_GLOBAL__N_130modified_bessel_i1_kernel_cudaERNS_18TensorIteratorBaseEENKUlvE_clEvENKUlvE_clEvEUldE_EEvS5_RKT_EUlibE_EEviT1_
; %bb.0:
	v_mov_b32_e32 v1, 0
	global_load_ushort v1, v1, s[0:1] offset:33
	s_load_dwordx4 s[4:7], s[0:1], 0x8
	s_load_dwordx2 s[8:9], s[0:1], 0x18
	s_load_dword s38, s[0:1], 0x0
	v_lshl_or_b32 v14, s2, 9, v0
	v_or_b32_e32 v0, 0x180, v14
	s_mov_b64 s[10:11], 0
	s_mov_b64 s[12:13], 0
	s_waitcnt lgkmcnt(0)
	v_cmp_le_i32_e32 vcc, s38, v0
	s_waitcnt vmcnt(0)
	v_readfirstlane_b32 s33, v1
	s_and_b32 s0, 0xffff, s33
	s_lshr_b32 s42, s0, 8
	s_and_saveexec_b64 s[0:1], vcc
	s_xor_b64 s[2:3], exec, s[0:1]
	s_cbranch_execz .LBB8_1075
; %bb.1:
	v_cmp_gt_i32_e32 vcc, s38, v14
	s_mov_b64 s[18:19], -1
	s_mov_b64 s[20:21], 0
	s_mov_b64 s[14:15], 0
	s_and_saveexec_b64 s[16:17], vcc
	s_cbranch_execz .LBB8_264
; %bb.2:
	v_mul_lo_u32 v0, v14, s9
	v_ashrrev_i32_e32 v1, 31, v0
	s_and_b32 s22, 0xffff, s42
	s_cmp_lt_i32 s22, 11
	v_lshl_add_u64 v[0:1], s[6:7], 0, v[0:1]
	s_cbranch_scc1 .LBB8_9
; %bb.3:
	s_cmp_gt_i32 s22, 25
	s_cbranch_scc0 .LBB8_30
; %bb.4:
	s_cmp_gt_i32 s22, 28
	s_cbranch_scc0 .LBB8_34
	;; [unrolled: 3-line block ×4, first 2 shown]
; %bb.7:
	s_cmp_eq_u32 s22, 46
	s_cbranch_scc0 .LBB8_40
; %bb.8:
	global_load_dword v2, v[0:1], off
	s_mov_b64 s[0:1], -1
	s_waitcnt vmcnt(0)
	v_lshlrev_b32_e32 v2, 16, v2
	v_cvt_f64_f32_e32 v[2:3], v2
	s_branch .LBB8_42
.LBB8_9:
                                        ; implicit-def: $vgpr2_vgpr3
	s_mov_b64 s[0:1], 0
	s_cbranch_execnz .LBB8_215
.LBB8_10:
	s_andn2_b64 vcc, exec, s[0:1]
	s_cbranch_vccnz .LBB8_262
.LBB8_11:
	s_mov_b32 s0, 0
	s_mov_b32 s1, 0x40200000
	s_waitcnt vmcnt(0)
	v_cmp_le_f64_e64 s[0:1], |v[2:3]|, s[0:1]
                                        ; implicit-def: $vgpr0_vgpr1
	s_and_saveexec_b64 s[12:13], s[0:1]
	s_xor_b64 s[0:1], exec, s[12:13]
	s_cbranch_execz .LBB8_17
; %bb.12:
	s_mov_b32 s12, 0xc3c4014
	v_fma_f64 v[0:1], |v[2:3]|, 0.5, -2.0
	v_mov_b32_e32 v4, 0xc38a0576
	v_mov_b32_e32 v5, 0xbc7857d0
	s_mov_b32 s13, 0x3c499f2a
	v_fmac_f64_e32 v[4:5], s[12:13], v[0:1]
	v_mov_b32_e32 v6, 0xc3c4014
	v_mov_b32_e32 v7, 0xbc499f2a
	s_mov_b32 s12, 0xe593bfac
	v_fmac_f64_e32 v[6:7], v[0:1], v[4:5]
	s_mov_b32 s13, 0x3ca663e3
	v_add_f64 v[6:7], v[6:7], s[12:13]
	s_mov_b32 s12, 0x7e0d1573
	v_fma_f64 v[4:5], v[0:1], v[6:7], -v[4:5]
	s_mov_b32 s13, 0xbcd3eaaa
	v_add_f64 v[4:5], v[4:5], s[12:13]
	s_mov_b32 s12, 0x615290c
	v_fma_f64 v[6:7], v[0:1], v[4:5], -v[6:7]
	;; [unrolled: 4-line block ×26, first 2 shown]
	s_mov_b32 s13, 0x3fd02a63
	v_add_f64 v[0:1], v[0:1], s[12:13]
	v_add_f64 v[0:1], v[0:1], -v[6:7]
	s_mov_b32 s12, 0x652b82fe
	v_mul_f64 v[0:1], v[0:1], 0.5
	s_mov_b32 s13, 0x3ff71547
	v_mul_f64 v[4:5], |v[2:3]|, v[0:1]
	v_mul_f64 v[0:1], |v[2:3]|, s[12:13]
	s_mov_b32 s12, 0xfefa39ef
	v_rndne_f64_e32 v[0:1], v[0:1]
	s_mov_b32 s13, 0xbfe62e42
	v_fma_f64 v[6:7], v[0:1], s[12:13], |v[2:3]|
	s_mov_b32 s12, 0x3b39803f
	s_mov_b32 s13, 0xbc7abc9e
	v_fmac_f64_e32 v[6:7], s[12:13], v[0:1]
	s_mov_b32 s12, 0x6a5dcb37
	v_mov_b32_e32 v8, 0xfca7ab0c
	v_mov_b32_e32 v9, 0x3e928af3
	s_mov_b32 s13, 0x3e5ade15
	v_fmac_f64_e32 v[8:9], s[12:13], v[6:7]
	v_mov_b32_e32 v10, 0x623fde64
	v_mov_b32_e32 v11, 0x3ec71dee
	v_fmac_f64_e32 v[10:11], v[6:7], v[8:9]
	v_mov_b32_e32 v8, 0x7c89e6b0
	v_mov_b32_e32 v9, 0x3efa0199
	;; [unrolled: 3-line block ×8, first 2 shown]
	v_fmac_f64_e32 v[8:9], v[6:7], v[10:11]
	v_fma_f64 v[8:9], v[6:7], v[8:9], 1.0
	v_cmp_ngt_f64_e32 vcc, 0, v[2:3]
	v_fma_f64 v[6:7], v[6:7], v[8:9], 1.0
	v_cvt_i32_f64_e32 v8, v[0:1]
                                        ; implicit-def: $vgpr0_vgpr1
	s_and_saveexec_b64 s[12:13], vcc
	s_xor_b64 s[12:13], exec, s[12:13]
; %bb.13:
	s_mov_b32 s18, 0
	s_mov_b32 s19, 0x40900000
	v_ldexp_f64 v[0:1], v[6:7], v8
	v_mov_b32_e32 v6, 0x7ff00000
	v_cmp_ngt_f64_e64 vcc, |v[2:3]|, s[18:19]
                                        ; implicit-def: $vgpr8
                                        ; implicit-def: $vgpr2_vgpr3
	s_nop 1
	v_cndmask_b32_e32 v1, v6, v1, vcc
	v_cndmask_b32_e32 v0, 0, v0, vcc
	v_mul_f64 v[0:1], v[0:1], v[4:5]
                                        ; implicit-def: $vgpr6_vgpr7
                                        ; implicit-def: $vgpr4_vgpr5
; %bb.14:
	s_andn2_saveexec_b64 s[12:13], s[12:13]
; %bb.15:
	s_mov_b32 s18, 0
	s_mov_b32 s19, 0x40900000
	v_ldexp_f64 v[0:1], -v[6:7], v8
	v_mov_b32_e32 v6, 0xfff00000
	v_cmp_ngt_f64_e64 vcc, |v[2:3]|, s[18:19]
	s_nop 1
	v_cndmask_b32_e32 v1, v6, v1, vcc
	v_cndmask_b32_e32 v0, 0, v0, vcc
	v_mul_f64 v[0:1], v[0:1], v[4:5]
; %bb.16:
	s_or_b64 exec, exec, s[12:13]
                                        ; implicit-def: $vgpr2_vgpr3
.LBB8_17:
	s_andn2_saveexec_b64 s[12:13], s[0:1]
	s_cbranch_execz .LBB8_23
; %bb.18:
	s_mov_b32 s0, 0
	v_and_b32_e32 v1, 0x7fffffff, v3
	v_mov_b32_e32 v0, v2
	s_mov_b32 s1, 0x40400000
	v_div_scale_f64 v[4:5], s[18:19], v[0:1], v[0:1], s[0:1]
	v_rcp_f64_e32 v[6:7], v[4:5]
	v_div_scale_f64 v[0:1], vcc, s[0:1], v[0:1], s[0:1]
	v_mov_b32_e32 v10, 0xfca7ab0c
	v_fma_f64 v[8:9], -v[4:5], v[6:7], 1.0
	v_fmac_f64_e32 v[6:7], v[6:7], v[8:9]
	v_fma_f64 v[8:9], -v[4:5], v[6:7], 1.0
	v_fmac_f64_e32 v[6:7], v[6:7], v[8:9]
	v_mul_f64 v[8:9], v[0:1], v[6:7]
	v_fma_f64 v[0:1], -v[4:5], v[8:9], v[0:1]
	v_div_fmas_f64 v[0:1], v[0:1], v[6:7], v[8:9]
	v_div_fixup_f64 v[0:1], v[0:1], |v[2:3]|, s[0:1]
	s_mov_b32 s0, 0xb352e8e6
	v_add_f64 v[0:1], v[0:1], -2.0
	v_mov_b32_e32 v4, 0xea87b950
	v_mov_b32_e32 v5, 0x3c545b8a
	s_mov_b32 s1, 0x3c61556d
	v_fmac_f64_e32 v[4:5], s[0:1], v[0:1]
	v_mov_b32_e32 v6, 0xb352e8e6
	v_mov_b32_e32 v7, 0xbc61556d
	s_mov_b32 s0, 0xb2532277
	v_fmac_f64_e32 v[6:7], v[0:1], v[4:5]
	s_mov_b32 s1, 0xbc8acea3
	v_add_f64 v[6:7], v[6:7], s[0:1]
	s_mov_b32 s0, 0x9c773320
	v_fma_f64 v[4:5], v[0:1], v[6:7], -v[4:5]
	s_mov_b32 s1, 0xbc82806c
	v_add_f64 v[4:5], v[4:5], s[0:1]
	s_mov_b32 s0, 0xfceb588a
	v_fma_f64 v[6:7], v[0:1], v[4:5], -v[6:7]
	;; [unrolled: 4-line block ×22, first 2 shown]
	s_mov_b32 s1, 0x3fe8ea18
	v_add_f64 v[0:1], v[0:1], s[0:1]
	s_mov_b32 s0, 0x652b82fe
	s_mov_b32 s1, 0x3ff71547
	v_mul_f64 v[4:5], |v[2:3]|, s[0:1]
	s_mov_b32 s0, 0xfefa39ef
	v_rndne_f64_e32 v[4:5], v[4:5]
	s_mov_b32 s1, 0xbfe62e42
	v_fma_f64 v[8:9], v[4:5], s[0:1], |v[2:3]|
	s_mov_b32 s0, 0x3b39803f
	s_mov_b32 s1, 0xbc7abc9e
	v_fmac_f64_e32 v[8:9], s[0:1], v[4:5]
	s_mov_b32 s0, 0x6a5dcb37
	v_mov_b32_e32 v11, 0x3e928af3
	s_mov_b32 s1, 0x3e5ade15
	v_fmac_f64_e32 v[10:11], s[0:1], v[8:9]
	v_mov_b32_e32 v12, 0x623fde64
	v_mov_b32_e32 v13, 0x3ec71dee
	v_fmac_f64_e32 v[12:13], v[8:9], v[10:11]
	v_mov_b32_e32 v10, 0x7c89e6b0
	v_mov_b32_e32 v11, 0x3efa0199
	;; [unrolled: 3-line block ×8, first 2 shown]
	v_fmac_f64_e32 v[10:11], v[8:9], v[12:13]
	v_fma_f64 v[10:11], v[8:9], v[10:11], 1.0
	s_mov_b32 s0, 0
	v_fma_f64 v[8:9], v[8:9], v[10:11], 1.0
	v_cvt_i32_f64_e32 v4, v[4:5]
	s_mov_b32 s1, 0x40900000
	v_ldexp_f64 v[4:5], v[8:9], v4
	v_mov_b32_e32 v8, 0x7ff00000
	v_cmp_ngt_f64_e64 s[0:1], |v[2:3]|, s[0:1]
	v_cmp_ngt_f64_e32 vcc, 0, v[2:3]
	v_add_f64 v[6:7], v[0:1], -v[6:7]
	v_cndmask_b32_e64 v5, v8, v5, s[0:1]
	v_cndmask_b32_e64 v4, 0, v4, s[0:1]
                                        ; implicit-def: $vgpr0_vgpr1
	s_and_saveexec_b64 s[0:1], vcc
	s_xor_b64 s[0:1], exec, s[0:1]
	s_cbranch_execz .LBB8_20
; %bb.19:
	s_mov_b32 s18, 0
	s_brev_b32 s19, 8
	v_mov_b32_e32 v0, 0x100
	v_cmp_lt_f64_e64 vcc, |v[2:3]|, s[18:19]
	v_mul_f64 v[6:7], v[6:7], 0.5
	v_mul_f64 v[4:5], v[4:5], v[6:7]
	v_cndmask_b32_e32 v0, 0, v0, vcc
	v_ldexp_f64 v[0:1], |v[2:3]|, v0
	v_rsq_f64_e32 v[2:3], v[0:1]
	s_nop 0
	v_mul_f64 v[6:7], v[0:1], v[2:3]
	v_mul_f64 v[2:3], v[2:3], 0.5
	v_fma_f64 v[8:9], -v[2:3], v[6:7], 0.5
	v_fmac_f64_e32 v[6:7], v[6:7], v[8:9]
	v_fma_f64 v[10:11], -v[6:7], v[6:7], v[0:1]
	v_fmac_f64_e32 v[2:3], v[2:3], v[8:9]
	v_fmac_f64_e32 v[6:7], v[10:11], v[2:3]
	v_fma_f64 v[8:9], -v[6:7], v[6:7], v[0:1]
	v_fmac_f64_e32 v[6:7], v[8:9], v[2:3]
	v_mov_b32_e32 v2, 0xffffff80
	v_cndmask_b32_e32 v2, 0, v2, vcc
	v_ldexp_f64 v[2:3], v[6:7], v2
	v_mov_b32_e32 v6, 0x260
	v_cmp_class_f64_e32 vcc, v[0:1], v6
	s_nop 1
	v_cndmask_b32_e32 v1, v3, v1, vcc
	v_cndmask_b32_e32 v0, v2, v0, vcc
	v_div_scale_f64 v[2:3], s[18:19], v[0:1], v[0:1], v[4:5]
	v_rcp_f64_e32 v[6:7], v[2:3]
	s_nop 0
	v_fma_f64 v[8:9], -v[2:3], v[6:7], 1.0
	v_fmac_f64_e32 v[6:7], v[6:7], v[8:9]
	v_fma_f64 v[8:9], -v[2:3], v[6:7], 1.0
	v_fmac_f64_e32 v[6:7], v[6:7], v[8:9]
	v_div_scale_f64 v[8:9], vcc, v[4:5], v[0:1], v[4:5]
	v_mul_f64 v[10:11], v[8:9], v[6:7]
	v_fma_f64 v[2:3], -v[2:3], v[10:11], v[8:9]
	s_nop 1
	v_div_fmas_f64 v[2:3], v[2:3], v[6:7], v[10:11]
	v_div_fixup_f64 v[0:1], v[2:3], v[0:1], v[4:5]
                                        ; implicit-def: $vgpr2_vgpr3
                                        ; implicit-def: $vgpr6_vgpr7
                                        ; implicit-def: $vgpr4_vgpr5
.LBB8_20:
	s_andn2_saveexec_b64 s[0:1], s[0:1]
	s_cbranch_execz .LBB8_22
; %bb.21:
	s_mov_b32 s18, 0
	s_brev_b32 s19, 8
	v_mov_b32_e32 v0, 0x100
	v_cmp_lt_f64_e64 vcc, |v[2:3]|, s[18:19]
	s_nop 1
	v_cndmask_b32_e32 v0, 0, v0, vcc
	v_ldexp_f64 v[0:1], |v[2:3]|, v0
	v_rsq_f64_e32 v[2:3], v[0:1]
	s_nop 0
	v_mul_f64 v[8:9], v[0:1], v[2:3]
	v_mul_f64 v[2:3], v[2:3], 0.5
	v_fma_f64 v[10:11], -v[2:3], v[8:9], 0.5
	v_fmac_f64_e32 v[8:9], v[8:9], v[10:11]
	v_fma_f64 v[12:13], -v[8:9], v[8:9], v[0:1]
	v_fmac_f64_e32 v[2:3], v[2:3], v[10:11]
	v_fmac_f64_e32 v[8:9], v[12:13], v[2:3]
	v_fma_f64 v[10:11], -v[8:9], v[8:9], v[0:1]
	v_fmac_f64_e32 v[8:9], v[10:11], v[2:3]
	v_mov_b32_e32 v2, 0xffffff80
	v_cndmask_b32_e32 v2, 0, v2, vcc
	v_ldexp_f64 v[2:3], v[8:9], v2
	v_mov_b32_e32 v8, 0x260
	v_cmp_class_f64_e32 vcc, v[0:1], v8
	s_nop 1
	v_cndmask_b32_e32 v1, v3, v1, vcc
	v_cndmask_b32_e32 v0, v2, v0, vcc
	v_mul_f64 v[2:3], v[6:7], -0.5
	v_mul_f64 v[2:3], v[4:5], v[2:3]
	v_div_scale_f64 v[4:5], s[18:19], v[0:1], v[0:1], v[2:3]
	v_rcp_f64_e32 v[6:7], v[4:5]
	s_nop 0
	v_fma_f64 v[8:9], -v[4:5], v[6:7], 1.0
	v_fmac_f64_e32 v[6:7], v[6:7], v[8:9]
	v_fma_f64 v[8:9], -v[4:5], v[6:7], 1.0
	v_fmac_f64_e32 v[6:7], v[6:7], v[8:9]
	v_div_scale_f64 v[8:9], vcc, v[2:3], v[0:1], v[2:3]
	v_mul_f64 v[10:11], v[8:9], v[6:7]
	v_fma_f64 v[4:5], -v[4:5], v[10:11], v[8:9]
	s_nop 1
	v_div_fmas_f64 v[4:5], v[4:5], v[6:7], v[10:11]
	v_div_fixup_f64 v[0:1], v[4:5], v[0:1], v[2:3]
.LBB8_22:
	s_or_b64 exec, exec, s[0:1]
.LBB8_23:
	s_or_b64 exec, exec, s[12:13]
	v_mul_lo_u32 v2, v14, s8
	v_ashrrev_i32_e32 v3, 31, v2
	s_and_b32 s24, s33, 0xff
	s_cmp_lt_i32 s24, 11
	v_lshl_add_u64 v[4:5], s[4:5], 0, v[2:3]
	s_cbranch_scc1 .LBB8_31
; %bb.24:
	s_and_b32 s25, 0xffff, s24
	s_cmp_gt_i32 s25, 25
	s_cbranch_scc0 .LBB8_35
; %bb.25:
	s_cmp_gt_i32 s25, 28
	s_cbranch_scc0 .LBB8_37
; %bb.26:
	;; [unrolled: 3-line block ×4, first 2 shown]
	s_mov_b64 s[18:19], 0
	s_mov_b64 s[0:1], -1
	s_cmp_eq_u32 s25, 46
	s_mov_b64 s[12:13], 0
	s_cbranch_scc0 .LBB8_46
; %bb.29:
	v_cvt_f32_f64_e32 v2, v[0:1]
	v_bfe_u32 v3, v2, 16, 1
	s_movk_i32 s0, 0x7fff
	v_add3_u32 v3, v2, v3, s0
	v_cmp_o_f32_e32 vcc, v2, v2
	v_mov_b32_e32 v2, 0x7fc0
	s_mov_b64 s[12:13], -1
	v_cndmask_b32_sdwa v2, v2, v3, vcc dst_sel:DWORD dst_unused:UNUSED_PAD src0_sel:DWORD src1_sel:WORD_1
	global_store_dword v[4:5], v2, off
	s_mov_b64 s[0:1], 0
	s_branch .LBB8_46
.LBB8_30:
	s_mov_b64 s[0:1], 0
                                        ; implicit-def: $vgpr2_vgpr3
	s_cbranch_execnz .LBB8_182
	s_branch .LBB8_214
.LBB8_31:
	s_mov_b64 s[0:1], 0
	s_mov_b64 s[12:13], 0
	s_cbranch_execnz .LBB8_115
.LBB8_32:
	s_andn2_b64 vcc, exec, s[12:13]
	s_cbranch_vccnz .LBB8_153
.LBB8_33:
	v_add_u32_e32 v14, 0x80, v14
	s_mov_b64 s[18:19], -1
	s_branch .LBB8_263
.LBB8_34:
	s_mov_b64 s[12:13], -1
	s_mov_b64 s[0:1], 0
                                        ; implicit-def: $vgpr2_vgpr3
	s_branch .LBB8_161
.LBB8_35:
	s_mov_b64 s[18:19], -1
	s_mov_b64 s[0:1], 0
	s_mov_b64 s[12:13], 0
	s_branch .LBB8_73
.LBB8_36:
	s_mov_b64 s[12:13], -1
	s_mov_b64 s[0:1], 0
                                        ; implicit-def: $vgpr2_vgpr3
	s_branch .LBB8_156
.LBB8_37:
	s_mov_b64 s[18:19], -1
	s_mov_b64 s[0:1], 0
	s_mov_b64 s[12:13], 0
	s_branch .LBB8_56
.LBB8_38:
	s_mov_b64 s[12:13], -1
	s_branch .LBB8_41
.LBB8_39:
	s_mov_b64 s[18:19], -1
	s_mov_b64 s[0:1], 0
	s_mov_b64 s[12:13], 0
	s_branch .LBB8_52
.LBB8_40:
	s_mov_b64 s[14:15], -1
.LBB8_41:
	s_mov_b64 s[0:1], 0
                                        ; implicit-def: $vgpr2_vgpr3
.LBB8_42:
	s_and_b64 vcc, exec, s[12:13]
	s_cbranch_vccz .LBB8_155
; %bb.43:
	s_cmp_eq_u32 s22, 44
	s_cbranch_scc0 .LBB8_154
; %bb.44:
	global_load_ubyte v4, v[0:1], off
	s_movk_i32 s12, 0xff
	v_bfrev_b32_e32 v5, 4
	v_mov_b32_e32 v6, 0x7ff80000
	v_bfrev_b32_e32 v7, 28
	s_mov_b64 s[0:1], -1
	s_mov_b64 s[14:15], 0
	s_waitcnt vmcnt(0)
	v_lshlrev_b32_e32 v2, 23, v4
	v_cvt_f64_f32_e32 v[2:3], v2
	v_cmp_ne_u32_e32 vcc, s12, v4
	s_nop 1
	v_cndmask_b32_e32 v2, v5, v2, vcc
	v_cndmask_b32_e32 v3, v6, v3, vcc
	v_cmp_ne_u32_e32 vcc, 0, v4
	s_nop 1
	v_cndmask_b32_e32 v3, v7, v3, vcc
	v_cndmask_b32_e32 v2, 0, v2, vcc
	s_branch .LBB8_155
.LBB8_45:
	s_mov_b64 s[18:19], -1
	s_mov_b64 s[0:1], 0
	s_mov_b64 s[12:13], 0
.LBB8_46:
	s_and_b64 vcc, exec, s[18:19]
	s_cbranch_vccz .LBB8_51
; %bb.47:
	s_cmp_eq_u32 s25, 44
	s_mov_b64 s[0:1], -1
	s_cbranch_scc0 .LBB8_51
; %bb.48:
	v_cvt_f32_f64_e32 v2, v[0:1]
	v_bfe_u32 v3, v2, 23, 8
	s_movk_i32 s0, 0xff
	v_cmp_ne_u32_e32 vcc, s0, v3
	v_mov_b32_e32 v6, 0xff
	s_and_saveexec_b64 s[12:13], vcc
; %bb.49:
	s_mov_b32 s0, 0x3fffff
	v_lshrrev_b32_e32 v6, 23, v2
	v_and_b32_e32 v7, 0x400000, v2
	v_and_or_b32 v2, v2, s0, v3
	v_cmp_ne_u32_e32 vcc, 0, v7
	v_cmp_ne_u32_e64 s[0:1], 0, v2
	s_and_b64 s[0:1], vcc, s[0:1]
	s_nop 0
	v_cndmask_b32_e64 v2, 0, 1, s[0:1]
	v_add_u32_e32 v6, v6, v2
; %bb.50:
	s_or_b64 exec, exec, s[12:13]
	s_mov_b64 s[12:13], -1
	s_mov_b64 s[0:1], 0
	global_store_byte v[4:5], v6, off
.LBB8_51:
	s_mov_b64 s[18:19], 0
.LBB8_52:
	s_and_b64 vcc, exec, s[18:19]
	s_cbranch_vccz .LBB8_55
; %bb.53:
	s_cmp_eq_u32 s25, 29
	s_mov_b64 s[0:1], -1
	s_cbranch_scc0 .LBB8_55
; %bb.54:
	v_trunc_f64_e32 v[2:3], v[0:1]
	s_movk_i32 s0, 0xffe0
	v_ldexp_f64 v[6:7], v[2:3], s0
	v_floor_f64_e32 v[6:7], v[6:7]
	v_fmac_f64_e32 v[2:3], 0xc1f00000, v[6:7]
	v_cvt_u32_f64_e32 v9, v[6:7]
	v_cvt_u32_f64_e32 v8, v[2:3]
	global_store_dwordx2 v[4:5], v[8:9], off
	s_mov_b64 s[12:13], -1
	s_mov_b64 s[0:1], 0
.LBB8_55:
	s_mov_b64 s[18:19], 0
.LBB8_56:
	s_and_b64 vcc, exec, s[18:19]
	s_cbranch_vccz .LBB8_72
; %bb.57:
	s_cmp_lt_i32 s25, 27
	s_mov_b64 s[12:13], -1
	s_cbranch_scc1 .LBB8_63
; %bb.58:
	s_cmp_gt_i32 s25, 27
	v_cvt_u32_f64_e32 v2, v[0:1]
	s_cbranch_scc0 .LBB8_60
; %bb.59:
	s_mov_b64 s[12:13], 0
	global_store_dword v[4:5], v2, off
.LBB8_60:
	s_andn2_b64 vcc, exec, s[12:13]
	s_cbranch_vccnz .LBB8_62
; %bb.61:
	global_store_short v[4:5], v2, off
.LBB8_62:
	s_mov_b64 s[12:13], 0
.LBB8_63:
	s_andn2_b64 vcc, exec, s[12:13]
	s_cbranch_vccnz .LBB8_71
; %bb.64:
	v_cvt_f32_f64_e32 v2, v[0:1]
	v_and_b32_e32 v3, 0x7fffffff, v2
	s_mov_b32 s12, 0x43800000
	v_cmp_gt_u32_e32 vcc, s12, v3
	v_mov_b32_e32 v6, 0x80
	s_and_saveexec_b64 s[12:13], vcc
	s_cbranch_execz .LBB8_70
; %bb.65:
	s_mov_b32 s18, 0x3bffffff
	v_cmp_lt_u32_e32 vcc, s18, v3
	s_mov_b64 s[18:19], 0
                                        ; implicit-def: $vgpr3
	s_and_saveexec_b64 s[22:23], vcc
	s_xor_b64 s[22:23], exec, s[22:23]
	s_cbranch_execz .LBB8_303
; %bb.66:
	v_bfe_u32 v3, v2, 20, 1
	s_mov_b32 s26, 0x487ffff
	v_add3_u32 v3, v2, v3, s26
	s_mov_b64 s[18:19], exec
	v_lshrrev_b32_e32 v3, 20, v3
	s_andn2_saveexec_b64 s[22:23], s[22:23]
	s_cbranch_execnz .LBB8_304
.LBB8_67:
	s_or_b64 exec, exec, s[22:23]
	v_mov_b32_e32 v6, 0
	s_and_saveexec_b64 s[22:23], s[18:19]
.LBB8_68:
	v_lshrrev_b32_e32 v2, 24, v2
	s_movk_i32 s18, 0x80
	v_and_or_b32 v6, v2, s18, v3
.LBB8_69:
	s_or_b64 exec, exec, s[22:23]
.LBB8_70:
	s_or_b64 exec, exec, s[12:13]
	global_store_byte v[4:5], v6, off
.LBB8_71:
	s_mov_b64 s[12:13], -1
.LBB8_72:
	s_mov_b64 s[18:19], 0
.LBB8_73:
	s_and_b64 vcc, exec, s[18:19]
	s_cbranch_vccz .LBB8_114
; %bb.74:
	s_cmp_gt_i32 s25, 22
	s_mov_b64 s[18:19], -1
	s_cbranch_scc0 .LBB8_106
; %bb.75:
	s_cmp_lt_i32 s25, 24
	s_mov_b64 s[12:13], -1
	s_cbranch_scc1 .LBB8_95
; %bb.76:
	s_cmp_gt_i32 s25, 24
	s_cbranch_scc0 .LBB8_84
; %bb.77:
	v_cvt_f32_f64_e32 v2, v[0:1]
	v_and_b32_e32 v3, 0x7fffffff, v2
	s_mov_b32 s12, 0x47800000
	v_cmp_gt_u32_e32 vcc, s12, v3
	v_mov_b32_e32 v6, 0x80
	s_and_saveexec_b64 s[12:13], vcc
	s_cbranch_execz .LBB8_83
; %bb.78:
	s_mov_b32 s18, 0x37ffffff
	v_cmp_lt_u32_e32 vcc, s18, v3
	s_mov_b64 s[18:19], 0
                                        ; implicit-def: $vgpr3
	s_and_saveexec_b64 s[22:23], vcc
	s_xor_b64 s[22:23], exec, s[22:23]
	s_cbranch_execz .LBB8_307
; %bb.79:
	v_bfe_u32 v3, v2, 21, 1
	s_mov_b32 s26, 0x88fffff
	v_add3_u32 v3, v2, v3, s26
	s_mov_b64 s[18:19], exec
	v_lshrrev_b32_e32 v3, 21, v3
	s_andn2_saveexec_b64 s[22:23], s[22:23]
	s_cbranch_execnz .LBB8_308
.LBB8_80:
	s_or_b64 exec, exec, s[22:23]
	v_mov_b32_e32 v6, 0
	s_and_saveexec_b64 s[22:23], s[18:19]
.LBB8_81:
	v_lshrrev_b32_e32 v2, 24, v2
	s_movk_i32 s18, 0x80
	v_and_or_b32 v6, v2, s18, v3
.LBB8_82:
	s_or_b64 exec, exec, s[22:23]
.LBB8_83:
	s_or_b64 exec, exec, s[12:13]
	s_mov_b64 s[12:13], 0
	global_store_byte v[4:5], v6, off
.LBB8_84:
	s_and_b64 vcc, exec, s[12:13]
	s_cbranch_vccz .LBB8_94
; %bb.85:
	v_cvt_f32_f64_e32 v2, v[0:1]
	v_and_b32_e32 v6, 0x7fffffff, v2
	s_mov_b32 s12, 0x43f00000
	v_cmp_gt_u32_e32 vcc, s12, v6
                                        ; implicit-def: $vgpr3
	s_and_saveexec_b64 s[12:13], vcc
	s_xor_b64 s[12:13], exec, s[12:13]
	s_cbranch_execz .LBB8_91
; %bb.86:
	s_mov_b32 s18, 0x3c7fffff
	v_cmp_lt_u32_e32 vcc, s18, v6
                                        ; implicit-def: $vgpr3
	s_and_saveexec_b64 s[18:19], vcc
	s_xor_b64 s[18:19], exec, s[18:19]
; %bb.87:
	v_bfe_u32 v3, v2, 20, 1
	s_mov_b32 s22, 0x407ffff
	v_add3_u32 v3, v2, v3, s22
	v_lshrrev_b32_e32 v6, 20, v3
	v_and_b32_e32 v3, 0xff00000, v3
	s_mov_b32 s22, 0x7f00000
	v_mov_b32_e32 v7, 0x7e
	v_cmp_ne_u32_e32 vcc, s22, v3
	s_nop 1
	v_cndmask_b32_e32 v3, v7, v6, vcc
; %bb.88:
	s_andn2_saveexec_b64 s[18:19], s[18:19]
; %bb.89:
	s_mov_b32 s22, 0x46800000
	v_add_f32_e64 v3, |v2|, s22
; %bb.90:
	s_or_b64 exec, exec, s[18:19]
                                        ; implicit-def: $vgpr6
.LBB8_91:
	s_andn2_saveexec_b64 s[12:13], s[12:13]
; %bb.92:
	s_mov_b32 s18, 0x7f800000
	v_mov_b32_e32 v3, 0x7e
	v_mov_b32_e32 v7, 0x7f
	v_cmp_lt_u32_e32 vcc, s18, v6
	s_nop 1
	v_cndmask_b32_e32 v3, v3, v7, vcc
; %bb.93:
	s_or_b64 exec, exec, s[12:13]
	v_lshrrev_b32_e32 v2, 24, v2
	s_movk_i32 s12, 0x80
	v_and_or_b32 v2, v2, s12, v3
	global_store_byte v[4:5], v2, off
.LBB8_94:
	s_mov_b64 s[12:13], 0
.LBB8_95:
	s_andn2_b64 vcc, exec, s[12:13]
	s_cbranch_vccnz .LBB8_105
; %bb.96:
	v_cvt_f32_f64_e32 v2, v[0:1]
	v_and_b32_e32 v6, 0x7fffffff, v2
	s_mov_b32 s12, 0x47800000
	v_cmp_gt_u32_e32 vcc, s12, v6
                                        ; implicit-def: $vgpr3
	s_and_saveexec_b64 s[12:13], vcc
	s_xor_b64 s[12:13], exec, s[12:13]
	s_cbranch_execz .LBB8_102
; %bb.97:
	s_mov_b32 s18, 0x387fffff
	v_cmp_lt_u32_e32 vcc, s18, v6
                                        ; implicit-def: $vgpr3
	s_and_saveexec_b64 s[18:19], vcc
	s_xor_b64 s[18:19], exec, s[18:19]
; %bb.98:
	v_bfe_u32 v3, v2, 21, 1
	s_mov_b32 s22, 0x80fffff
	v_add3_u32 v3, v2, v3, s22
	v_lshrrev_b32_e32 v3, 21, v3
; %bb.99:
	s_andn2_saveexec_b64 s[18:19], s[18:19]
; %bb.100:
	s_mov_b32 s22, 0x43000000
	v_add_f32_e64 v3, |v2|, s22
; %bb.101:
	s_or_b64 exec, exec, s[18:19]
                                        ; implicit-def: $vgpr6
.LBB8_102:
	s_andn2_saveexec_b64 s[12:13], s[12:13]
; %bb.103:
	s_mov_b32 s18, 0x7f800000
	v_mov_b32_e32 v3, 0x7c
	v_mov_b32_e32 v7, 0x7f
	v_cmp_lt_u32_e32 vcc, s18, v6
	s_nop 1
	v_cndmask_b32_e32 v3, v3, v7, vcc
; %bb.104:
	s_or_b64 exec, exec, s[12:13]
	v_lshrrev_b32_e32 v2, 24, v2
	s_movk_i32 s12, 0x80
	v_and_or_b32 v2, v2, s12, v3
	global_store_byte v[4:5], v2, off
.LBB8_105:
	s_mov_b64 s[18:19], 0
	s_mov_b64 s[12:13], -1
.LBB8_106:
	s_andn2_b64 vcc, exec, s[18:19]
	s_cbranch_vccnz .LBB8_114
; %bb.107:
	s_cmp_gt_i32 s25, 14
	s_mov_b64 s[18:19], -1
	s_cbranch_scc0 .LBB8_111
; %bb.108:
	s_cmp_eq_u32 s25, 15
	s_mov_b64 s[0:1], -1
	s_cbranch_scc0 .LBB8_110
; %bb.109:
	v_cvt_f32_f64_e32 v2, v[0:1]
	v_bfe_u32 v3, v2, 16, 1
	s_movk_i32 s0, 0x7fff
	v_add3_u32 v3, v2, v3, s0
	v_cmp_o_f32_e32 vcc, v2, v2
	v_mov_b32_e32 v2, 0x7fc0
	s_mov_b64 s[12:13], -1
	v_cndmask_b32_sdwa v2, v2, v3, vcc dst_sel:DWORD dst_unused:UNUSED_PAD src0_sel:DWORD src1_sel:WORD_1
	global_store_short v[4:5], v2, off
	s_mov_b64 s[0:1], 0
.LBB8_110:
	s_mov_b64 s[18:19], 0
.LBB8_111:
	s_and_b64 vcc, exec, s[18:19]
	s_cbranch_vccz .LBB8_114
; %bb.112:
	s_cmp_eq_u32 s25, 11
	s_mov_b64 s[0:1], -1
	s_cbranch_scc0 .LBB8_114
; %bb.113:
	v_cmp_neq_f64_e32 vcc, 0, v[0:1]
	s_mov_b64 s[0:1], 0
	s_mov_b64 s[12:13], -1
	v_cndmask_b32_e64 v2, 0, 1, vcc
	global_store_byte v[4:5], v2, off
.LBB8_114:
	s_branch .LBB8_32
.LBB8_115:
	s_and_b32 s18, 0xffff, s24
	s_cmp_lt_i32 s18, 5
	s_mov_b64 s[12:13], -1
	s_cbranch_scc1 .LBB8_136
; %bb.116:
	s_cmp_lt_i32 s18, 8
	s_cbranch_scc1 .LBB8_126
; %bb.117:
	s_cmp_lt_i32 s18, 9
	s_cbranch_scc1 .LBB8_123
; %bb.118:
	s_cmp_gt_i32 s18, 9
	s_cbranch_scc0 .LBB8_120
; %bb.119:
	v_mov_b32_e32 v2, 0
	v_mov_b32_e32 v3, v2
	global_store_dwordx4 v[4:5], v[0:3], off
	s_mov_b64 s[12:13], 0
.LBB8_120:
	s_andn2_b64 vcc, exec, s[12:13]
	s_cbranch_vccnz .LBB8_122
; %bb.121:
	v_cvt_f32_f64_e32 v2, v[0:1]
	v_mov_b32_e32 v3, 0
	global_store_dwordx2 v[4:5], v[2:3], off
.LBB8_122:
	s_mov_b64 s[12:13], 0
.LBB8_123:
	s_andn2_b64 vcc, exec, s[12:13]
	s_cbranch_vccnz .LBB8_125
; %bb.124:
	s_movk_i32 s12, 0x1ff
	v_and_or_b32 v2, v1, s12, v0
	v_cmp_ne_u32_e32 vcc, 0, v2
	v_lshrrev_b32_e32 v3, 8, v1
	s_movk_i32 s12, 0xffe
	v_cndmask_b32_e64 v2, 0, 1, vcc
	v_bfe_u32 v6, v1, 20, 11
	v_and_or_b32 v2, v3, s12, v2
	v_sub_u32_e32 v7, 0x3f1, v6
	v_or_b32_e32 v3, 0x1000, v2
	v_med3_i32 v7, v7, 0, 13
	v_lshrrev_b32_e32 v8, v7, v3
	v_lshlrev_b32_e32 v7, v7, v8
	v_cmp_ne_u32_e32 vcc, v7, v3
	v_add_u32_e32 v6, 0xfffffc10, v6
	v_lshl_or_b32 v7, v6, 12, v2
	v_cndmask_b32_e64 v3, 0, 1, vcc
	v_or_b32_e32 v3, v8, v3
	v_cmp_gt_i32_e32 vcc, 1, v6
	s_movk_i32 s12, 0x40f
	s_nop 0
	v_cndmask_b32_e32 v3, v7, v3, vcc
	v_and_b32_e32 v7, 7, v3
	v_cmp_lt_i32_e32 vcc, 5, v7
	v_lshrrev_b32_e32 v3, 2, v3
	s_nop 0
	v_cndmask_b32_e64 v8, 0, 1, vcc
	v_cmp_eq_u32_e32 vcc, 3, v7
	s_nop 1
	v_cndmask_b32_e64 v7, 0, 1, vcc
	v_or_b32_e32 v7, v7, v8
	v_add_u32_e32 v3, v3, v7
	v_mov_b32_e32 v7, 0x7c00
	v_cmp_gt_i32_e32 vcc, 31, v6
	v_mov_b32_e32 v8, 0x7e00
	s_nop 0
	v_cndmask_b32_e32 v3, v7, v3, vcc
	v_cmp_ne_u32_e32 vcc, 0, v2
	s_nop 1
	v_cndmask_b32_e32 v2, v7, v8, vcc
	v_cmp_eq_u32_e32 vcc, s12, v6
	s_mov_b32 s12, 0x8000
	s_nop 0
	v_cndmask_b32_e32 v2, v3, v2, vcc
	v_and_b32_sdwa v3, v1, s12 dst_sel:DWORD dst_unused:UNUSED_PAD src0_sel:WORD_1 src1_sel:DWORD
	s_mov_b32 s12, 0xffff
	v_bitop3_b32 v2, v3, s12, v2 bitop3:0xc8
	global_store_dword v[4:5], v2, off
.LBB8_125:
	s_mov_b64 s[12:13], 0
.LBB8_126:
	s_andn2_b64 vcc, exec, s[12:13]
	s_cbranch_vccnz .LBB8_135
; %bb.127:
	s_cmp_lt_i32 s18, 6
	s_mov_b64 s[12:13], -1
	s_cbranch_scc1 .LBB8_133
; %bb.128:
	s_cmp_gt_i32 s18, 6
	s_cbranch_scc0 .LBB8_130
; %bb.129:
	global_store_dwordx2 v[4:5], v[0:1], off
	s_mov_b64 s[12:13], 0
.LBB8_130:
	s_andn2_b64 vcc, exec, s[12:13]
	s_cbranch_vccnz .LBB8_132
; %bb.131:
	v_cvt_f32_f64_e32 v2, v[0:1]
	global_store_dword v[4:5], v2, off
.LBB8_132:
	s_mov_b64 s[12:13], 0
.LBB8_133:
	s_andn2_b64 vcc, exec, s[12:13]
	s_cbranch_vccnz .LBB8_135
; %bb.134:
	s_movk_i32 s12, 0x1ff
	v_and_or_b32 v2, v1, s12, v0
	v_cmp_ne_u32_e32 vcc, 0, v2
	v_lshrrev_b32_e32 v3, 8, v1
	s_movk_i32 s12, 0xffe
	v_cndmask_b32_e64 v2, 0, 1, vcc
	v_bfe_u32 v6, v1, 20, 11
	v_and_or_b32 v2, v3, s12, v2
	v_sub_u32_e32 v7, 0x3f1, v6
	v_or_b32_e32 v3, 0x1000, v2
	v_med3_i32 v7, v7, 0, 13
	v_lshrrev_b32_e32 v8, v7, v3
	v_lshlrev_b32_e32 v7, v7, v8
	v_cmp_ne_u32_e32 vcc, v7, v3
	v_add_u32_e32 v6, 0xfffffc10, v6
	v_lshl_or_b32 v7, v6, 12, v2
	v_cndmask_b32_e64 v3, 0, 1, vcc
	v_or_b32_e32 v3, v8, v3
	v_cmp_gt_i32_e32 vcc, 1, v6
	s_movk_i32 s12, 0x40f
	s_nop 0
	v_cndmask_b32_e32 v3, v7, v3, vcc
	v_and_b32_e32 v7, 7, v3
	v_cmp_lt_i32_e32 vcc, 5, v7
	v_lshrrev_b32_e32 v3, 2, v3
	s_nop 0
	v_cndmask_b32_e64 v8, 0, 1, vcc
	v_cmp_eq_u32_e32 vcc, 3, v7
	s_nop 1
	v_cndmask_b32_e64 v7, 0, 1, vcc
	v_or_b32_e32 v7, v7, v8
	v_add_u32_e32 v3, v3, v7
	v_mov_b32_e32 v7, 0x7c00
	v_cmp_gt_i32_e32 vcc, 31, v6
	v_mov_b32_e32 v8, 0x7e00
	s_nop 0
	v_cndmask_b32_e32 v3, v7, v3, vcc
	v_cmp_ne_u32_e32 vcc, 0, v2
	s_nop 1
	v_cndmask_b32_e32 v2, v7, v8, vcc
	v_cmp_eq_u32_e32 vcc, s12, v6
	s_mov_b32 s12, 0x8000
	s_nop 0
	v_cndmask_b32_e32 v2, v3, v2, vcc
	v_lshrrev_b32_e32 v3, 16, v1
	v_and_or_b32 v2, v3, s12, v2
	global_store_short v[4:5], v2, off
.LBB8_135:
	s_mov_b64 s[12:13], 0
.LBB8_136:
	s_andn2_b64 vcc, exec, s[12:13]
	s_cbranch_vccnz .LBB8_152
; %bb.137:
	s_cmp_lt_i32 s18, 2
	s_mov_b64 s[12:13], -1
	s_cbranch_scc1 .LBB8_147
; %bb.138:
	s_cmp_lt_i32 s18, 3
	s_cbranch_scc1 .LBB8_144
; %bb.139:
	s_cmp_gt_i32 s18, 3
	s_cbranch_scc0 .LBB8_141
; %bb.140:
	v_trunc_f64_e32 v[2:3], v[0:1]
	s_movk_i32 s12, 0xffe0
	v_ldexp_f64 v[6:7], v[2:3], s12
	v_floor_f64_e32 v[6:7], v[6:7]
	v_fmac_f64_e32 v[2:3], 0xc1f00000, v[6:7]
	v_cvt_i32_f64_e32 v9, v[6:7]
	v_cvt_u32_f64_e32 v8, v[2:3]
	global_store_dwordx2 v[4:5], v[8:9], off
	s_mov_b64 s[12:13], 0
.LBB8_141:
	s_andn2_b64 vcc, exec, s[12:13]
	s_cbranch_vccnz .LBB8_143
; %bb.142:
	v_cvt_i32_f64_e32 v2, v[0:1]
	global_store_dword v[4:5], v2, off
.LBB8_143:
	s_mov_b64 s[12:13], 0
.LBB8_144:
	s_andn2_b64 vcc, exec, s[12:13]
	s_cbranch_vccnz .LBB8_146
; %bb.145:
	v_cvt_i32_f64_e32 v2, v[0:1]
	global_store_short v[4:5], v2, off
.LBB8_146:
	s_mov_b64 s[12:13], 0
.LBB8_147:
	s_andn2_b64 vcc, exec, s[12:13]
	s_cbranch_vccnz .LBB8_152
; %bb.148:
	s_cmp_gt_i32 s18, 0
	s_mov_b64 s[12:13], -1
	s_cbranch_scc0 .LBB8_150
; %bb.149:
	v_cvt_i32_f64_e32 v2, v[0:1]
	global_store_byte v[4:5], v2, off
	s_mov_b64 s[12:13], 0
.LBB8_150:
	s_andn2_b64 vcc, exec, s[12:13]
	s_cbranch_vccnz .LBB8_152
; %bb.151:
	v_trunc_f64_e32 v[0:1], v[0:1]
	s_movk_i32 s12, 0xffe0
	v_ldexp_f64 v[2:3], v[0:1], s12
	v_floor_f64_e32 v[2:3], v[2:3]
	v_fmac_f64_e32 v[0:1], 0xc1f00000, v[2:3]
	v_cvt_u32_f64_e32 v0, v[0:1]
	global_store_byte v[4:5], v0, off
.LBB8_152:
	s_branch .LBB8_33
.LBB8_153:
	s_mov_b64 s[18:19], 0
                                        ; implicit-def: $vgpr14
	s_branch .LBB8_263
.LBB8_154:
	s_mov_b64 s[14:15], -1
                                        ; implicit-def: $vgpr2_vgpr3
.LBB8_155:
	s_mov_b64 s[12:13], 0
.LBB8_156:
	s_and_b64 vcc, exec, s[12:13]
	s_cbranch_vccz .LBB8_160
; %bb.157:
	s_cmp_eq_u32 s22, 29
	s_cbranch_scc0 .LBB8_159
; %bb.158:
	global_load_dwordx2 v[2:3], v[0:1], off
	s_mov_b64 s[0:1], -1
	s_mov_b64 s[14:15], 0
	s_mov_b64 s[12:13], 0
	s_waitcnt vmcnt(0)
	v_cvt_f64_u32_e32 v[4:5], v3
	v_cvt_f64_u32_e32 v[2:3], v2
	v_ldexp_f64 v[4:5], v[4:5], 32
	v_add_f64 v[2:3], v[4:5], v[2:3]
	s_branch .LBB8_161
.LBB8_159:
	s_mov_b64 s[14:15], -1
                                        ; implicit-def: $vgpr2_vgpr3
.LBB8_160:
	s_mov_b64 s[12:13], 0
.LBB8_161:
	s_and_b64 vcc, exec, s[12:13]
	s_cbranch_vccz .LBB8_181
; %bb.162:
	s_cmp_lt_i32 s22, 27
	s_cbranch_scc1 .LBB8_165
; %bb.163:
	s_cmp_gt_i32 s22, 27
	s_cbranch_scc0 .LBB8_166
; %bb.164:
	global_load_dword v2, v[0:1], off
	s_mov_b64 s[0:1], 0
	s_waitcnt vmcnt(0)
	v_cvt_f64_u32_e32 v[2:3], v2
	s_branch .LBB8_167
.LBB8_165:
	s_mov_b64 s[0:1], -1
                                        ; implicit-def: $vgpr2_vgpr3
	s_branch .LBB8_170
.LBB8_166:
	s_mov_b64 s[0:1], -1
                                        ; implicit-def: $vgpr2_vgpr3
.LBB8_167:
	s_andn2_b64 vcc, exec, s[0:1]
	s_cbranch_vccnz .LBB8_169
; %bb.168:
	global_load_ushort v2, v[0:1], off
	s_waitcnt vmcnt(0)
	v_cvt_f64_u32_e32 v[2:3], v2
.LBB8_169:
	s_mov_b64 s[0:1], 0
.LBB8_170:
	s_andn2_b64 vcc, exec, s[0:1]
	s_cbranch_vccnz .LBB8_180
; %bb.171:
	global_load_ubyte v4, v[0:1], off
	s_movk_i32 s0, 0x7f
	s_waitcnt vmcnt(0)
	v_cmp_lt_i16_e32 vcc, s0, v4
	s_mov_b64 s[0:1], 0
	s_and_saveexec_b64 s[12:13], vcc
	s_xor_b64 s[12:13], exec, s[12:13]
	s_cbranch_execz .LBB8_175
; %bb.172:
	s_movk_i32 s0, 0x80
	v_cmp_eq_u16_e32 vcc, s0, v4
	s_mov_b64 s[0:1], -1
	s_and_saveexec_b64 s[18:19], vcc
; %bb.173:
	s_xor_b64 s[0:1], exec, -1
; %bb.174:
	s_or_b64 exec, exec, s[18:19]
	s_and_b64 s[0:1], s[0:1], exec
.LBB8_175:
	s_or_saveexec_b64 s[12:13], s[12:13]
	v_bfrev_b32_e32 v2, 4
	v_mov_b32_e32 v3, 0x7ff80000
	s_xor_b64 exec, exec, s[12:13]
; %bb.176:
	v_cmp_ne_u16_e32 vcc, 0, v4
	s_andn2_b64 s[0:1], s[0:1], exec
	s_and_b64 s[18:19], vcc, exec
	v_mov_b64_e32 v[2:3], 0
	s_or_b64 s[0:1], s[0:1], s[18:19]
; %bb.177:
	s_or_b64 exec, exec, s[12:13]
	s_and_saveexec_b64 s[12:13], s[0:1]
	s_cbranch_execz .LBB8_179
; %bb.178:
	v_and_b32_e32 v3, 0xffff, v4
	v_lshlrev_b32_e32 v2, 24, v4
	v_and_b32_e32 v4, 7, v3
	v_ffbh_u32_e32 v6, v4
	v_min_u32_e32 v6, 32, v6
	v_subrev_u32_e32 v7, 28, v6
	v_bfe_u32 v5, v3, 3, 4
	v_lshlrev_b32_e32 v3, v7, v3
	v_sub_u32_e32 v6, 29, v6
	v_and_b32_e32 v3, 7, v3
	v_cmp_eq_u32_e32 vcc, 0, v5
	v_and_b32_e32 v2, 0x80000000, v2
	s_nop 0
	v_cndmask_b32_e32 v5, v5, v6, vcc
	v_cndmask_b32_e32 v3, v4, v3, vcc
	v_mov_b32_e32 v4, 0x3b800000
	v_lshlrev_b32_e32 v3, 20, v3
	v_lshl_add_u32 v4, v5, 23, v4
	v_or3_b32 v2, v2, v4, v3
	v_cvt_f64_f32_e32 v[2:3], v2
.LBB8_179:
	s_or_b64 exec, exec, s[12:13]
.LBB8_180:
	s_mov_b64 s[0:1], -1
.LBB8_181:
	s_branch .LBB8_214
.LBB8_182:
	s_cmp_gt_i32 s22, 22
	s_cbranch_scc0 .LBB8_194
; %bb.183:
	s_cmp_lt_i32 s22, 24
	s_cbranch_scc1 .LBB8_195
; %bb.184:
	s_cmp_gt_i32 s22, 24
	s_cbranch_scc0 .LBB8_196
; %bb.185:
	global_load_ubyte v4, v[0:1], off
	s_movk_i32 s0, 0x7f
	s_waitcnt vmcnt(0)
	v_cmp_lt_i16_e32 vcc, s0, v4
	s_mov_b64 s[0:1], 0
	s_and_saveexec_b64 s[12:13], vcc
	s_xor_b64 s[12:13], exec, s[12:13]
	s_cbranch_execz .LBB8_189
; %bb.186:
	s_movk_i32 s0, 0x80
	v_cmp_eq_u16_e32 vcc, s0, v4
	s_mov_b64 s[0:1], -1
	s_and_saveexec_b64 s[18:19], vcc
; %bb.187:
	s_xor_b64 s[0:1], exec, -1
; %bb.188:
	s_or_b64 exec, exec, s[18:19]
	s_and_b64 s[0:1], s[0:1], exec
.LBB8_189:
	s_or_saveexec_b64 s[12:13], s[12:13]
	v_bfrev_b32_e32 v2, 4
	v_mov_b32_e32 v3, 0x7ff80000
	s_xor_b64 exec, exec, s[12:13]
; %bb.190:
	v_cmp_ne_u16_e32 vcc, 0, v4
	s_andn2_b64 s[0:1], s[0:1], exec
	s_and_b64 s[18:19], vcc, exec
	v_mov_b64_e32 v[2:3], 0
	s_or_b64 s[0:1], s[0:1], s[18:19]
; %bb.191:
	s_or_b64 exec, exec, s[12:13]
	s_and_saveexec_b64 s[12:13], s[0:1]
	s_cbranch_execz .LBB8_193
; %bb.192:
	v_and_b32_e32 v3, 0xffff, v4
	v_lshlrev_b32_e32 v2, 24, v4
	v_and_b32_e32 v4, 3, v3
	v_ffbh_u32_e32 v6, v4
	v_min_u32_e32 v6, 32, v6
	v_subrev_u32_e32 v7, 29, v6
	v_bfe_u32 v5, v3, 2, 5
	v_lshlrev_b32_e32 v3, v7, v3
	v_sub_u32_e32 v6, 30, v6
	v_and_b32_e32 v3, 3, v3
	v_cmp_eq_u32_e32 vcc, 0, v5
	v_and_b32_e32 v2, 0x80000000, v2
	s_nop 0
	v_cndmask_b32_e32 v5, v5, v6, vcc
	v_cndmask_b32_e32 v3, v4, v3, vcc
	v_mov_b32_e32 v4, 0x37800000
	v_lshlrev_b32_e32 v3, 21, v3
	v_lshl_add_u32 v4, v5, 23, v4
	v_or3_b32 v2, v2, v4, v3
	v_cvt_f64_f32_e32 v[2:3], v2
.LBB8_193:
	s_or_b64 exec, exec, s[12:13]
	s_mov_b64 s[0:1], 0
	s_branch .LBB8_197
.LBB8_194:
	s_mov_b64 s[12:13], -1
                                        ; implicit-def: $vgpr2_vgpr3
	s_branch .LBB8_203
.LBB8_195:
	s_mov_b64 s[0:1], -1
                                        ; implicit-def: $vgpr2_vgpr3
	s_branch .LBB8_200
.LBB8_196:
	s_mov_b64 s[0:1], -1
                                        ; implicit-def: $vgpr2_vgpr3
.LBB8_197:
	s_and_b64 vcc, exec, s[0:1]
	s_cbranch_vccz .LBB8_199
; %bb.198:
	global_load_ubyte v2, v[0:1], off
	s_mov_b32 s0, 0x7f800000
	s_waitcnt vmcnt(0)
	v_lshlrev_b32_e32 v2, 24, v2
	v_and_b32_e32 v3, 0x7f000000, v2
	v_ffbh_u32_e32 v4, v3
	v_min_u32_e32 v4, 32, v4
	v_sub_u32_e64 v4, v4, 4 clamp
	v_lshlrev_b32_e32 v6, v4, v3
	v_lshlrev_b32_e32 v4, 23, v4
	v_lshrrev_b32_e32 v6, 4, v6
	v_add_u32_e32 v5, 0x1000000, v3
	v_sub_u32_e32 v4, v6, v4
	v_ashrrev_i32_e32 v5, 8, v5
	v_add_u32_e32 v4, 0x3c000000, v4
	v_and_or_b32 v4, v5, s0, v4
	v_cmp_ne_u32_e32 vcc, 0, v3
	s_brev_b32 s0, 1
	s_nop 0
	v_cndmask_b32_e32 v3, 0, v4, vcc
	v_and_or_b32 v2, v2, s0, v3
	v_cvt_f64_f32_e32 v[2:3], v2
.LBB8_199:
	s_mov_b64 s[0:1], 0
.LBB8_200:
	s_andn2_b64 vcc, exec, s[0:1]
	s_cbranch_vccnz .LBB8_202
; %bb.201:
	global_load_ubyte v2, v[0:1], off
	s_movk_i32 s0, 0x7f00
	s_brev_b32 s1, 16
	s_waitcnt vmcnt(0)
	v_lshlrev_b16_e32 v3, 8, v2
	v_lshlrev_b32_e32 v2, 25, v2
	v_lshrrev_b32_e32 v4, 4, v2
	v_and_or_b32 v5, v3, s0, 0.5
	v_or_b32_e32 v4, 0x70000000, v4
	v_add_f32_e32 v5, -0.5, v5
	v_mul_f32_e32 v4, 0x7800000, v4
	v_cmp_gt_u32_e32 vcc, s1, v2
	v_bfe_i32 v3, v3, 0, 16
	s_brev_b32 s0, 1
	v_cndmask_b32_e32 v2, v4, v5, vcc
	v_and_or_b32 v2, v3, s0, v2
	v_cvt_f64_f32_e32 v[2:3], v2
.LBB8_202:
	s_mov_b64 s[12:13], 0
	s_mov_b64 s[0:1], -1
.LBB8_203:
	s_andn2_b64 vcc, exec, s[12:13]
	s_cbranch_vccnz .LBB8_214
; %bb.204:
	s_cmp_gt_i32 s22, 14
	s_cbranch_scc0 .LBB8_207
; %bb.205:
	s_cmp_eq_u32 s22, 15
	s_cbranch_scc0 .LBB8_208
; %bb.206:
	global_load_ushort v2, v[0:1], off
	s_mov_b64 s[0:1], -1
	s_mov_b64 s[14:15], 0
	s_waitcnt vmcnt(0)
	v_lshlrev_b32_e32 v2, 16, v2
	v_cvt_f64_f32_e32 v[2:3], v2
	s_branch .LBB8_209
.LBB8_207:
	s_mov_b64 s[12:13], -1
                                        ; implicit-def: $vgpr2_vgpr3
	s_branch .LBB8_210
.LBB8_208:
	s_mov_b64 s[14:15], -1
                                        ; implicit-def: $vgpr2_vgpr3
.LBB8_209:
	s_mov_b64 s[12:13], 0
.LBB8_210:
	s_and_b64 vcc, exec, s[12:13]
	s_cbranch_vccz .LBB8_214
; %bb.211:
	s_cmp_eq_u32 s22, 11
	s_cbranch_scc0 .LBB8_213
; %bb.212:
	global_load_ubyte v3, v[0:1], off
	v_mov_b32_e32 v4, 0x3ff00000
	v_mov_b32_e32 v2, 0
	s_mov_b64 s[0:1], -1
	s_mov_b64 s[14:15], 0
	s_waitcnt vmcnt(0)
	v_cmp_ne_u16_e32 vcc, 0, v3
	s_nop 1
	v_cndmask_b32_e32 v3, 0, v4, vcc
	s_branch .LBB8_214
.LBB8_213:
	s_mov_b64 s[14:15], -1
                                        ; implicit-def: $vgpr2_vgpr3
.LBB8_214:
	s_branch .LBB8_10
.LBB8_215:
	s_cmp_lt_i32 s22, 5
	s_cbranch_scc1 .LBB8_220
; %bb.216:
	s_cmp_lt_i32 s22, 8
	s_cbranch_scc1 .LBB8_221
; %bb.217:
	;; [unrolled: 3-line block ×3, first 2 shown]
	s_cmp_gt_i32 s22, 9
	s_cbranch_scc0 .LBB8_223
; %bb.219:
	global_load_dwordx2 v[2:3], v[0:1], off
	s_mov_b64 s[0:1], 0
	s_branch .LBB8_224
.LBB8_220:
                                        ; implicit-def: $vgpr2_vgpr3
	s_branch .LBB8_242
.LBB8_221:
	s_mov_b64 s[0:1], -1
                                        ; implicit-def: $vgpr2_vgpr3
	s_branch .LBB8_230
.LBB8_222:
	s_mov_b64 s[0:1], -1
                                        ; implicit-def: $vgpr2_vgpr3
	s_branch .LBB8_227
.LBB8_223:
	s_mov_b64 s[0:1], -1
                                        ; implicit-def: $vgpr2_vgpr3
.LBB8_224:
	s_andn2_b64 vcc, exec, s[0:1]
	s_cbranch_vccnz .LBB8_226
; %bb.225:
	global_load_dword v2, v[0:1], off
	s_waitcnt vmcnt(0)
	v_cvt_f64_f32_e32 v[2:3], v2
.LBB8_226:
	s_mov_b64 s[0:1], 0
.LBB8_227:
	s_andn2_b64 vcc, exec, s[0:1]
	s_cbranch_vccnz .LBB8_229
; %bb.228:
	global_load_dword v2, v[0:1], off
	s_waitcnt vmcnt(0)
	v_cvt_f32_f16_e32 v2, v2
	v_cvt_f64_f32_e32 v[2:3], v2
.LBB8_229:
	s_mov_b64 s[0:1], 0
.LBB8_230:
	s_andn2_b64 vcc, exec, s[0:1]
	s_cbranch_vccnz .LBB8_241
; %bb.231:
	s_cmp_lt_i32 s22, 6
	s_cbranch_scc1 .LBB8_234
; %bb.232:
	s_cmp_gt_i32 s22, 6
	s_cbranch_scc0 .LBB8_235
; %bb.233:
	global_load_dwordx2 v[2:3], v[0:1], off
	s_mov_b64 s[0:1], 0
	s_branch .LBB8_236
.LBB8_234:
	s_mov_b64 s[0:1], -1
                                        ; implicit-def: $vgpr2_vgpr3
	s_branch .LBB8_239
.LBB8_235:
	s_mov_b64 s[0:1], -1
                                        ; implicit-def: $vgpr2_vgpr3
.LBB8_236:
	s_andn2_b64 vcc, exec, s[0:1]
	s_cbranch_vccnz .LBB8_238
; %bb.237:
	global_load_dword v2, v[0:1], off
	s_waitcnt vmcnt(0)
	v_cvt_f64_f32_e32 v[2:3], v2
.LBB8_238:
	s_mov_b64 s[0:1], 0
.LBB8_239:
	s_andn2_b64 vcc, exec, s[0:1]
	s_cbranch_vccnz .LBB8_241
; %bb.240:
	global_load_ushort v2, v[0:1], off
	s_waitcnt vmcnt(0)
	v_cvt_f32_f16_e32 v2, v2
	v_cvt_f64_f32_e32 v[2:3], v2
.LBB8_241:
	s_cbranch_execnz .LBB8_261
.LBB8_242:
	s_cmp_lt_i32 s22, 2
	s_cbranch_scc1 .LBB8_246
; %bb.243:
	s_cmp_lt_i32 s22, 3
	s_cbranch_scc1 .LBB8_247
; %bb.244:
	s_cmp_gt_i32 s22, 3
	s_cbranch_scc0 .LBB8_248
; %bb.245:
	global_load_dwordx2 v[2:3], v[0:1], off
	s_mov_b64 s[0:1], 0
	s_waitcnt vmcnt(0)
	v_cvt_f64_i32_e32 v[4:5], v3
	v_cvt_f64_u32_e32 v[2:3], v2
	v_ldexp_f64 v[4:5], v[4:5], 32
	v_add_f64 v[2:3], v[4:5], v[2:3]
	s_branch .LBB8_249
.LBB8_246:
	s_mov_b64 s[0:1], -1
                                        ; implicit-def: $vgpr2_vgpr3
	s_branch .LBB8_255
.LBB8_247:
	s_mov_b64 s[0:1], -1
                                        ; implicit-def: $vgpr2_vgpr3
	s_branch .LBB8_252
.LBB8_248:
	s_mov_b64 s[0:1], -1
                                        ; implicit-def: $vgpr2_vgpr3
.LBB8_249:
	s_andn2_b64 vcc, exec, s[0:1]
	s_cbranch_vccnz .LBB8_251
; %bb.250:
	global_load_dword v2, v[0:1], off
	s_waitcnt vmcnt(0)
	v_cvt_f64_i32_e32 v[2:3], v2
.LBB8_251:
	s_mov_b64 s[0:1], 0
.LBB8_252:
	s_andn2_b64 vcc, exec, s[0:1]
	s_cbranch_vccnz .LBB8_254
; %bb.253:
	global_load_sshort v2, v[0:1], off
	s_waitcnt vmcnt(0)
	v_cvt_f64_i32_e32 v[2:3], v2
.LBB8_254:
	s_mov_b64 s[0:1], 0
.LBB8_255:
	s_andn2_b64 vcc, exec, s[0:1]
	s_cbranch_vccnz .LBB8_261
; %bb.256:
	s_cmp_gt_i32 s22, 0
	s_cbranch_scc0 .LBB8_258
; %bb.257:
	global_load_sbyte v2, v[0:1], off
	s_mov_b64 s[0:1], 0
	s_waitcnt vmcnt(0)
	v_cvt_f64_i32_e32 v[2:3], v2
	s_branch .LBB8_259
.LBB8_258:
	s_mov_b64 s[0:1], -1
                                        ; implicit-def: $vgpr2_vgpr3
.LBB8_259:
	s_andn2_b64 vcc, exec, s[0:1]
	s_cbranch_vccnz .LBB8_261
; %bb.260:
	global_load_ubyte v0, v[0:1], off
	s_waitcnt vmcnt(0)
	v_cvt_f64_u32_e32 v[2:3], v0
.LBB8_261:
	s_branch .LBB8_11
.LBB8_262:
	s_mov_b64 s[0:1], 0
                                        ; implicit-def: $vgpr14
	s_mov_b64 s[18:19], 0
.LBB8_263:
	s_and_b64 s[12:13], s[0:1], exec
	s_and_b64 s[14:15], s[14:15], exec
	s_orn2_b64 s[18:19], s[18:19], exec
.LBB8_264:
	s_or_b64 exec, exec, s[16:17]
	s_mov_b64 s[22:23], 0
	s_mov_b64 s[0:1], 0
                                        ; implicit-def: $vgpr0_vgpr1
                                        ; implicit-def: $vgpr2_vgpr3
	s_and_saveexec_b64 s[16:17], s[18:19]
	s_cbranch_execz .LBB8_273
; %bb.265:
	v_cmp_gt_i32_e32 vcc, s38, v14
	s_mov_b64 s[0:1], -1
	s_mov_b64 s[18:19], s[14:15]
	s_mov_b64 s[20:21], s[12:13]
	s_and_saveexec_b64 s[22:23], vcc
	s_cbranch_execz .LBB8_537
; %bb.266:
	v_mul_lo_u32 v0, v14, s9
	v_ashrrev_i32_e32 v1, 31, v0
	s_and_b32 s26, 0xffff, s42
	s_cmp_lt_i32 s26, 11
	v_lshl_add_u64 v[0:1], s[6:7], 0, v[0:1]
	s_cbranch_scc1 .LBB8_276
; %bb.267:
	s_cmp_gt_i32 s26, 25
	s_cbranch_scc0 .LBB8_297
; %bb.268:
	s_cmp_gt_i32 s26, 28
	s_cbranch_scc0 .LBB8_299
	;; [unrolled: 3-line block ×4, first 2 shown]
; %bb.271:
	s_cmp_eq_u32 s26, 46
	s_mov_b64 s[20:21], 0
	s_cbranch_scc0 .LBB8_309
; %bb.272:
	global_load_dword v2, v[0:1], off
	s_mov_b64 s[18:19], 0
	s_waitcnt vmcnt(0)
	v_lshlrev_b32_e32 v2, 16, v2
	v_cvt_f64_f32_e32 v[2:3], v2
	s_branch .LBB8_310
.LBB8_273:
	s_or_b64 exec, exec, s[16:17]
	s_mov_b64 s[16:17], 0
	s_and_saveexec_b64 s[18:19], s[14:15]
	s_cbranch_execnz .LBB8_895
.LBB8_274:
	s_or_b64 exec, exec, s[18:19]
	s_and_saveexec_b64 s[14:15], s[20:21]
	s_xor_b64 s[14:15], exec, s[14:15]
	s_cbranch_execz .LBB8_896
.LBB8_275:
	global_load_ubyte v3, v[0:1], off
	v_mov_b32_e32 v4, 0x3ff00000
	s_waitcnt vmcnt(1)
	v_mov_b32_e32 v2, 0
	s_or_b64 s[0:1], s[0:1], exec
	s_waitcnt vmcnt(0)
	v_cmp_ne_u16_e32 vcc, 0, v3
	s_nop 1
	v_cndmask_b32_e32 v3, 0, v4, vcc
	s_or_b64 exec, exec, s[14:15]
	s_and_saveexec_b64 s[14:15], s[22:23]
	s_cbranch_execz .LBB8_942
	s_branch .LBB8_897
.LBB8_276:
	s_mov_b64 s[0:1], 0
                                        ; implicit-def: $vgpr2_vgpr3
	s_mov_b64 s[18:19], s[14:15]
	s_cbranch_execnz .LBB8_487
.LBB8_277:
	s_andn2_b64 vcc, exec, s[0:1]
	s_cbranch_vccnz .LBB8_535
.LBB8_278:
	s_mov_b32 s0, 0
	s_mov_b32 s1, 0x40200000
	s_waitcnt vmcnt(0)
	v_cmp_le_f64_e64 s[0:1], |v[2:3]|, s[0:1]
                                        ; implicit-def: $vgpr0_vgpr1
	s_and_saveexec_b64 s[20:21], s[0:1]
	s_xor_b64 s[0:1], exec, s[20:21]
	s_cbranch_execz .LBB8_284
; %bb.279:
	s_mov_b32 s20, 0xc3c4014
	v_fma_f64 v[0:1], |v[2:3]|, 0.5, -2.0
	v_mov_b32_e32 v4, 0xc38a0576
	v_mov_b32_e32 v5, 0xbc7857d0
	s_mov_b32 s21, 0x3c499f2a
	v_fmac_f64_e32 v[4:5], s[20:21], v[0:1]
	v_mov_b32_e32 v6, 0xc3c4014
	v_mov_b32_e32 v7, 0xbc499f2a
	s_mov_b32 s20, 0xe593bfac
	v_fmac_f64_e32 v[6:7], v[0:1], v[4:5]
	s_mov_b32 s21, 0x3ca663e3
	v_add_f64 v[6:7], v[6:7], s[20:21]
	s_mov_b32 s20, 0x7e0d1573
	v_fma_f64 v[4:5], v[0:1], v[6:7], -v[4:5]
	s_mov_b32 s21, 0xbcd3eaaa
	v_add_f64 v[4:5], v[4:5], s[20:21]
	s_mov_b32 s20, 0x615290c
	v_fma_f64 v[6:7], v[0:1], v[4:5], -v[6:7]
	s_mov_b32 s21, 0x3d011d7f
	v_add_f64 v[6:7], v[6:7], s[20:21]
	s_mov_b32 s20, 0x1c8f0b3b
	v_fma_f64 v[4:5], v[0:1], v[6:7], -v[4:5]
	s_mov_b32 s21, 0xbd2c628e
	v_add_f64 v[4:5], v[4:5], s[20:21]
	s_mov_b32 s20, 0x4779d955
	v_fma_f64 v[6:7], v[0:1], v[4:5], -v[6:7]
	s_mov_b32 s21, 0x3d56af78
	v_add_f64 v[6:7], v[6:7], s[20:21]
	s_mov_b32 s20, 0x5fb70366
	v_fma_f64 v[4:5], v[0:1], v[6:7], -v[4:5]
	s_mov_b32 s21, 0xbd817383
	v_add_f64 v[4:5], v[4:5], s[20:21]
	s_mov_b32 s20, 0xb21d3154
	v_fma_f64 v[6:7], v[0:1], v[4:5], -v[6:7]
	s_mov_b32 s21, 0x3da9cee2
	v_add_f64 v[6:7], v[6:7], s[20:21]
	s_mov_b32 s20, 0x97eb07de
	v_fma_f64 v[4:5], v[0:1], v[6:7], -v[4:5]
	s_mov_b32 s21, 0xbdd25103
	v_add_f64 v[4:5], v[4:5], s[20:21]
	s_mov_b32 s20, 0xb43fdf6c
	v_fma_f64 v[6:7], v[0:1], v[4:5], -v[6:7]
	s_mov_b32 s21, 0x3df8ea34
	v_add_f64 v[6:7], v[6:7], s[20:21]
	s_mov_b32 s20, 0x28ea67e6
	v_fma_f64 v[4:5], v[0:1], v[6:7], -v[4:5]
	s_mov_b32 s21, 0xbe20361b
	v_add_f64 v[4:5], v[4:5], s[20:21]
	s_mov_b32 s20, 0x2395010
	v_fma_f64 v[6:7], v[0:1], v[4:5], -v[6:7]
	s_mov_b32 s21, 0x3e44258e
	v_add_f64 v[6:7], v[6:7], s[20:21]
	s_mov_b32 s20, 0x24b8c3e8
	v_fma_f64 v[4:5], v[0:1], v[6:7], -v[4:5]
	s_mov_b32 s21, 0xbe67dd3e
	v_add_f64 v[4:5], v[4:5], s[20:21]
	s_mov_b32 s20, 0xb347d108
	v_fma_f64 v[6:7], v[0:1], v[4:5], -v[6:7]
	s_mov_b32 s21, 0x3e8ae344
	v_add_f64 v[6:7], v[6:7], s[20:21]
	s_mov_b32 s20, 0x8363992a
	v_fma_f64 v[4:5], v[0:1], v[6:7], -v[4:5]
	s_mov_b32 s21, 0xbeacc079
	v_add_f64 v[4:5], v[4:5], s[20:21]
	s_mov_b32 s20, 0xd511afc5
	v_fma_f64 v[6:7], v[0:1], v[4:5], -v[6:7]
	s_mov_b32 s21, 0x3ecd1c4e
	v_add_f64 v[6:7], v[6:7], s[20:21]
	s_mov_b32 s20, 0xb8debbcf
	v_fma_f64 v[4:5], v[0:1], v[6:7], -v[4:5]
	s_mov_b32 s21, 0xbeebd5f9
	v_add_f64 v[4:5], v[4:5], s[20:21]
	s_mov_b32 s20, 0x42c70d0b
	v_fma_f64 v[6:7], v[0:1], v[4:5], -v[6:7]
	s_mov_b32 s21, 0x3f0911b5
	v_add_f64 v[6:7], v[6:7], s[20:21]
	s_mov_b32 s20, 0xd3d694fe
	v_fma_f64 v[4:5], v[0:1], v[6:7], -v[4:5]
	s_mov_b32 s21, 0xbf2533ca
	v_add_f64 v[4:5], v[4:5], s[20:21]
	s_mov_b32 s20, 0xb6c6df7d
	v_fma_f64 v[6:7], v[0:1], v[4:5], -v[6:7]
	s_mov_b32 s21, 0x3f40c95d
	v_add_f64 v[6:7], v[6:7], s[20:21]
	s_mov_b32 s20, 0xb3cd4a4
	v_fma_f64 v[4:5], v[0:1], v[6:7], -v[4:5]
	s_mov_b32 s21, 0xbf58cc62
	v_add_f64 v[4:5], v[4:5], s[20:21]
	s_mov_b32 s20, 0x49d3a1b4
	v_fma_f64 v[6:7], v[0:1], v[4:5], -v[6:7]
	s_mov_b32 s21, 0x3f710653
	v_add_f64 v[6:7], v[6:7], s[20:21]
	s_mov_b32 s20, 0x7913a26a
	v_fma_f64 v[4:5], v[0:1], v[6:7], -v[4:5]
	s_mov_b32 s21, 0xbf85a29f
	v_add_f64 v[4:5], v[4:5], s[20:21]
	s_mov_b32 s20, 0xe7bb2349
	v_fma_f64 v[6:7], v[0:1], v[4:5], -v[6:7]
	s_mov_b32 s21, 0x3f9951e3
	v_add_f64 v[6:7], v[6:7], s[20:21]
	s_mov_b32 s20, 0x537c9ebc
	v_fma_f64 v[4:5], v[0:1], v[6:7], -v[4:5]
	s_mov_b32 s21, 0xbfab1bbc
	v_add_f64 v[4:5], v[4:5], s[20:21]
	s_mov_b32 s20, 0xd536f53c
	v_fma_f64 v[6:7], v[0:1], v[4:5], -v[6:7]
	s_mov_b32 s21, 0x3fba46da
	v_add_f64 v[6:7], v[6:7], s[20:21]
	s_mov_b32 s20, 0x469192e
	v_fma_f64 v[4:5], v[0:1], v[6:7], -v[4:5]
	s_mov_b32 s21, 0xbfc694d1
	v_add_f64 v[4:5], v[4:5], s[20:21]
	s_mov_b32 s20, 0x724a7ffa
	v_fma_f64 v[0:1], v[0:1], v[4:5], -v[6:7]
	s_mov_b32 s21, 0x3fd02a63
	v_add_f64 v[0:1], v[0:1], s[20:21]
	v_add_f64 v[0:1], v[0:1], -v[6:7]
	s_mov_b32 s20, 0x652b82fe
	v_mul_f64 v[0:1], v[0:1], 0.5
	s_mov_b32 s21, 0x3ff71547
	v_mul_f64 v[4:5], |v[2:3]|, v[0:1]
	v_mul_f64 v[0:1], |v[2:3]|, s[20:21]
	s_mov_b32 s20, 0xfefa39ef
	v_rndne_f64_e32 v[0:1], v[0:1]
	s_mov_b32 s21, 0xbfe62e42
	v_fma_f64 v[6:7], v[0:1], s[20:21], |v[2:3]|
	s_mov_b32 s20, 0x3b39803f
	s_mov_b32 s21, 0xbc7abc9e
	v_fmac_f64_e32 v[6:7], s[20:21], v[0:1]
	s_mov_b32 s20, 0x6a5dcb37
	v_mov_b32_e32 v8, 0xfca7ab0c
	v_mov_b32_e32 v9, 0x3e928af3
	s_mov_b32 s21, 0x3e5ade15
	v_fmac_f64_e32 v[8:9], s[20:21], v[6:7]
	v_mov_b32_e32 v10, 0x623fde64
	v_mov_b32_e32 v11, 0x3ec71dee
	v_fmac_f64_e32 v[10:11], v[6:7], v[8:9]
	v_mov_b32_e32 v8, 0x7c89e6b0
	v_mov_b32_e32 v9, 0x3efa0199
	;; [unrolled: 3-line block ×8, first 2 shown]
	v_fmac_f64_e32 v[8:9], v[6:7], v[10:11]
	v_fma_f64 v[8:9], v[6:7], v[8:9], 1.0
	v_cmp_ngt_f64_e32 vcc, 0, v[2:3]
	v_fma_f64 v[6:7], v[6:7], v[8:9], 1.0
	v_cvt_i32_f64_e32 v8, v[0:1]
                                        ; implicit-def: $vgpr0_vgpr1
	s_and_saveexec_b64 s[20:21], vcc
	s_xor_b64 s[20:21], exec, s[20:21]
; %bb.280:
	s_mov_b32 s24, 0
	s_mov_b32 s25, 0x40900000
	v_ldexp_f64 v[0:1], v[6:7], v8
	v_mov_b32_e32 v6, 0x7ff00000
	v_cmp_ngt_f64_e64 vcc, |v[2:3]|, s[24:25]
                                        ; implicit-def: $vgpr8
                                        ; implicit-def: $vgpr2_vgpr3
	s_nop 1
	v_cndmask_b32_e32 v1, v6, v1, vcc
	v_cndmask_b32_e32 v0, 0, v0, vcc
	v_mul_f64 v[0:1], v[0:1], v[4:5]
                                        ; implicit-def: $vgpr6_vgpr7
                                        ; implicit-def: $vgpr4_vgpr5
; %bb.281:
	s_andn2_saveexec_b64 s[20:21], s[20:21]
; %bb.282:
	s_mov_b32 s24, 0
	s_mov_b32 s25, 0x40900000
	v_ldexp_f64 v[0:1], -v[6:7], v8
	v_mov_b32_e32 v6, 0xfff00000
	v_cmp_ngt_f64_e64 vcc, |v[2:3]|, s[24:25]
	s_nop 1
	v_cndmask_b32_e32 v1, v6, v1, vcc
	v_cndmask_b32_e32 v0, 0, v0, vcc
	v_mul_f64 v[0:1], v[0:1], v[4:5]
; %bb.283:
	s_or_b64 exec, exec, s[20:21]
                                        ; implicit-def: $vgpr2_vgpr3
.LBB8_284:
	s_andn2_saveexec_b64 s[20:21], s[0:1]
	s_cbranch_execz .LBB8_290
; %bb.285:
	s_mov_b32 s0, 0
	v_and_b32_e32 v1, 0x7fffffff, v3
	v_mov_b32_e32 v0, v2
	s_mov_b32 s1, 0x40400000
	v_div_scale_f64 v[4:5], s[24:25], v[0:1], v[0:1], s[0:1]
	v_rcp_f64_e32 v[6:7], v[4:5]
	v_div_scale_f64 v[0:1], vcc, s[0:1], v[0:1], s[0:1]
	v_mov_b32_e32 v10, 0xfca7ab0c
	v_fma_f64 v[8:9], -v[4:5], v[6:7], 1.0
	v_fmac_f64_e32 v[6:7], v[6:7], v[8:9]
	v_fma_f64 v[8:9], -v[4:5], v[6:7], 1.0
	v_fmac_f64_e32 v[6:7], v[6:7], v[8:9]
	v_mul_f64 v[8:9], v[0:1], v[6:7]
	v_fma_f64 v[0:1], -v[4:5], v[8:9], v[0:1]
	v_div_fmas_f64 v[0:1], v[0:1], v[6:7], v[8:9]
	v_div_fixup_f64 v[0:1], v[0:1], |v[2:3]|, s[0:1]
	s_mov_b32 s0, 0xb352e8e6
	v_add_f64 v[0:1], v[0:1], -2.0
	v_mov_b32_e32 v4, 0xea87b950
	v_mov_b32_e32 v5, 0x3c545b8a
	s_mov_b32 s1, 0x3c61556d
	v_fmac_f64_e32 v[4:5], s[0:1], v[0:1]
	v_mov_b32_e32 v6, 0xb352e8e6
	v_mov_b32_e32 v7, 0xbc61556d
	s_mov_b32 s0, 0xb2532277
	v_fmac_f64_e32 v[6:7], v[0:1], v[4:5]
	s_mov_b32 s1, 0xbc8acea3
	v_add_f64 v[6:7], v[6:7], s[0:1]
	s_mov_b32 s0, 0x9c773320
	v_fma_f64 v[4:5], v[0:1], v[6:7], -v[4:5]
	s_mov_b32 s1, 0xbc82806c
	v_add_f64 v[4:5], v[4:5], s[0:1]
	s_mov_b32 s0, 0xfceb588a
	v_fma_f64 v[6:7], v[0:1], v[4:5], -v[6:7]
	;; [unrolled: 4-line block ×22, first 2 shown]
	s_mov_b32 s1, 0x3fe8ea18
	v_add_f64 v[0:1], v[0:1], s[0:1]
	s_mov_b32 s0, 0x652b82fe
	s_mov_b32 s1, 0x3ff71547
	v_mul_f64 v[4:5], |v[2:3]|, s[0:1]
	s_mov_b32 s0, 0xfefa39ef
	v_rndne_f64_e32 v[4:5], v[4:5]
	s_mov_b32 s1, 0xbfe62e42
	v_fma_f64 v[8:9], v[4:5], s[0:1], |v[2:3]|
	s_mov_b32 s0, 0x3b39803f
	s_mov_b32 s1, 0xbc7abc9e
	v_fmac_f64_e32 v[8:9], s[0:1], v[4:5]
	s_mov_b32 s0, 0x6a5dcb37
	v_mov_b32_e32 v11, 0x3e928af3
	s_mov_b32 s1, 0x3e5ade15
	v_fmac_f64_e32 v[10:11], s[0:1], v[8:9]
	v_mov_b32_e32 v12, 0x623fde64
	v_mov_b32_e32 v13, 0x3ec71dee
	v_fmac_f64_e32 v[12:13], v[8:9], v[10:11]
	v_mov_b32_e32 v10, 0x7c89e6b0
	v_mov_b32_e32 v11, 0x3efa0199
	v_fmac_f64_e32 v[10:11], v[8:9], v[12:13]
	v_mov_b32_e32 v12, 0x14761f6e
	v_mov_b32_e32 v13, 0x3f2a01a0
	v_fmac_f64_e32 v[12:13], v[8:9], v[10:11]
	v_mov_b32_e32 v10, 0x1852b7b0
	v_mov_b32_e32 v11, 0x3f56c16c
	v_fmac_f64_e32 v[10:11], v[8:9], v[12:13]
	v_mov_b32_e32 v12, 0x11122322
	v_mov_b32_e32 v13, 0x3f811111
	v_fmac_f64_e32 v[12:13], v[8:9], v[10:11]
	v_mov_b32_e32 v10, 0x555502a1
	v_mov_b32_e32 v11, 0x3fa55555
	v_fmac_f64_e32 v[10:11], v[8:9], v[12:13]
	v_mov_b32_e32 v12, 0x55555511
	v_mov_b32_e32 v13, 0x3fc55555
	v_fmac_f64_e32 v[12:13], v[8:9], v[10:11]
	v_mov_b32_e32 v10, 11
	v_mov_b32_e32 v11, 0x3fe00000
	v_fmac_f64_e32 v[10:11], v[8:9], v[12:13]
	v_fma_f64 v[10:11], v[8:9], v[10:11], 1.0
	s_mov_b32 s0, 0
	v_fma_f64 v[8:9], v[8:9], v[10:11], 1.0
	v_cvt_i32_f64_e32 v4, v[4:5]
	s_mov_b32 s1, 0x40900000
	v_ldexp_f64 v[4:5], v[8:9], v4
	v_mov_b32_e32 v8, 0x7ff00000
	v_cmp_ngt_f64_e64 s[0:1], |v[2:3]|, s[0:1]
	v_cmp_ngt_f64_e32 vcc, 0, v[2:3]
	v_add_f64 v[6:7], v[0:1], -v[6:7]
	v_cndmask_b32_e64 v5, v8, v5, s[0:1]
	v_cndmask_b32_e64 v4, 0, v4, s[0:1]
                                        ; implicit-def: $vgpr0_vgpr1
	s_and_saveexec_b64 s[0:1], vcc
	s_xor_b64 s[0:1], exec, s[0:1]
	s_cbranch_execz .LBB8_287
; %bb.286:
	s_mov_b32 s24, 0
	s_brev_b32 s25, 8
	v_mov_b32_e32 v0, 0x100
	v_cmp_lt_f64_e64 vcc, |v[2:3]|, s[24:25]
	v_mul_f64 v[6:7], v[6:7], 0.5
	v_mul_f64 v[4:5], v[4:5], v[6:7]
	v_cndmask_b32_e32 v0, 0, v0, vcc
	v_ldexp_f64 v[0:1], |v[2:3]|, v0
	v_rsq_f64_e32 v[2:3], v[0:1]
	s_nop 0
	v_mul_f64 v[6:7], v[0:1], v[2:3]
	v_mul_f64 v[2:3], v[2:3], 0.5
	v_fma_f64 v[8:9], -v[2:3], v[6:7], 0.5
	v_fmac_f64_e32 v[6:7], v[6:7], v[8:9]
	v_fma_f64 v[10:11], -v[6:7], v[6:7], v[0:1]
	v_fmac_f64_e32 v[2:3], v[2:3], v[8:9]
	v_fmac_f64_e32 v[6:7], v[10:11], v[2:3]
	v_fma_f64 v[8:9], -v[6:7], v[6:7], v[0:1]
	v_fmac_f64_e32 v[6:7], v[8:9], v[2:3]
	v_mov_b32_e32 v2, 0xffffff80
	v_cndmask_b32_e32 v2, 0, v2, vcc
	v_ldexp_f64 v[2:3], v[6:7], v2
	v_mov_b32_e32 v6, 0x260
	v_cmp_class_f64_e32 vcc, v[0:1], v6
	s_nop 1
	v_cndmask_b32_e32 v1, v3, v1, vcc
	v_cndmask_b32_e32 v0, v2, v0, vcc
	v_div_scale_f64 v[2:3], s[24:25], v[0:1], v[0:1], v[4:5]
	v_rcp_f64_e32 v[6:7], v[2:3]
	s_nop 0
	v_fma_f64 v[8:9], -v[2:3], v[6:7], 1.0
	v_fmac_f64_e32 v[6:7], v[6:7], v[8:9]
	v_fma_f64 v[8:9], -v[2:3], v[6:7], 1.0
	v_fmac_f64_e32 v[6:7], v[6:7], v[8:9]
	v_div_scale_f64 v[8:9], vcc, v[4:5], v[0:1], v[4:5]
	v_mul_f64 v[10:11], v[8:9], v[6:7]
	v_fma_f64 v[2:3], -v[2:3], v[10:11], v[8:9]
	s_nop 1
	v_div_fmas_f64 v[2:3], v[2:3], v[6:7], v[10:11]
	v_div_fixup_f64 v[0:1], v[2:3], v[0:1], v[4:5]
                                        ; implicit-def: $vgpr2_vgpr3
                                        ; implicit-def: $vgpr6_vgpr7
                                        ; implicit-def: $vgpr4_vgpr5
.LBB8_287:
	s_andn2_saveexec_b64 s[0:1], s[0:1]
	s_cbranch_execz .LBB8_289
; %bb.288:
	s_mov_b32 s24, 0
	s_brev_b32 s25, 8
	v_mov_b32_e32 v0, 0x100
	v_cmp_lt_f64_e64 vcc, |v[2:3]|, s[24:25]
	s_nop 1
	v_cndmask_b32_e32 v0, 0, v0, vcc
	v_ldexp_f64 v[0:1], |v[2:3]|, v0
	v_rsq_f64_e32 v[2:3], v[0:1]
	s_nop 0
	v_mul_f64 v[8:9], v[0:1], v[2:3]
	v_mul_f64 v[2:3], v[2:3], 0.5
	v_fma_f64 v[10:11], -v[2:3], v[8:9], 0.5
	v_fmac_f64_e32 v[8:9], v[8:9], v[10:11]
	v_fma_f64 v[12:13], -v[8:9], v[8:9], v[0:1]
	v_fmac_f64_e32 v[2:3], v[2:3], v[10:11]
	v_fmac_f64_e32 v[8:9], v[12:13], v[2:3]
	v_fma_f64 v[10:11], -v[8:9], v[8:9], v[0:1]
	v_fmac_f64_e32 v[8:9], v[10:11], v[2:3]
	v_mov_b32_e32 v2, 0xffffff80
	v_cndmask_b32_e32 v2, 0, v2, vcc
	v_ldexp_f64 v[2:3], v[8:9], v2
	v_mov_b32_e32 v8, 0x260
	v_cmp_class_f64_e32 vcc, v[0:1], v8
	s_nop 1
	v_cndmask_b32_e32 v1, v3, v1, vcc
	v_cndmask_b32_e32 v0, v2, v0, vcc
	v_mul_f64 v[2:3], v[6:7], -0.5
	v_mul_f64 v[2:3], v[4:5], v[2:3]
	v_div_scale_f64 v[4:5], s[24:25], v[0:1], v[0:1], v[2:3]
	v_rcp_f64_e32 v[6:7], v[4:5]
	s_nop 0
	v_fma_f64 v[8:9], -v[4:5], v[6:7], 1.0
	v_fmac_f64_e32 v[6:7], v[6:7], v[8:9]
	v_fma_f64 v[8:9], -v[4:5], v[6:7], 1.0
	v_fmac_f64_e32 v[6:7], v[6:7], v[8:9]
	v_div_scale_f64 v[8:9], vcc, v[2:3], v[0:1], v[2:3]
	v_mul_f64 v[10:11], v[8:9], v[6:7]
	v_fma_f64 v[4:5], -v[4:5], v[10:11], v[8:9]
	s_nop 1
	v_div_fmas_f64 v[4:5], v[4:5], v[6:7], v[10:11]
	v_div_fixup_f64 v[0:1], v[4:5], v[0:1], v[2:3]
.LBB8_289:
	s_or_b64 exec, exec, s[0:1]
.LBB8_290:
	s_or_b64 exec, exec, s[20:21]
	v_mul_lo_u32 v2, v14, s8
	v_ashrrev_i32_e32 v3, 31, v2
	s_and_b32 s28, s33, 0xff
	s_cmp_lt_i32 s28, 11
	v_lshl_add_u64 v[4:5], s[4:5], 0, v[2:3]
	s_cbranch_scc1 .LBB8_298
; %bb.291:
	s_and_b32 s29, 0xffff, s28
	s_cmp_gt_i32 s29, 25
	s_cbranch_scc0 .LBB8_300
; %bb.292:
	s_cmp_gt_i32 s29, 28
	s_cbranch_scc0 .LBB8_302
; %bb.293:
	;; [unrolled: 3-line block ×4, first 2 shown]
	s_mov_b64 s[24:25], 0
	s_mov_b64 s[0:1], -1
	s_cmp_eq_u32 s29, 46
	s_mov_b64 s[20:21], 0
	s_cbranch_scc0 .LBB8_314
; %bb.296:
	v_cvt_f32_f64_e32 v2, v[0:1]
	v_bfe_u32 v3, v2, 16, 1
	s_movk_i32 s0, 0x7fff
	v_add3_u32 v3, v2, v3, s0
	v_cmp_o_f32_e32 vcc, v2, v2
	v_mov_b32_e32 v2, 0x7fc0
	s_mov_b64 s[20:21], -1
	v_cndmask_b32_sdwa v2, v2, v3, vcc dst_sel:DWORD dst_unused:UNUSED_PAD src0_sel:DWORD src1_sel:WORD_1
	global_store_dword v[4:5], v2, off
	s_mov_b64 s[0:1], 0
	s_branch .LBB8_314
.LBB8_297:
	s_mov_b64 s[20:21], -1
	s_mov_b64 s[0:1], 0
	s_mov_b64 s[18:19], s[14:15]
                                        ; implicit-def: $vgpr2_vgpr3
	s_branch .LBB8_453
.LBB8_298:
	s_mov_b64 s[24:25], -1
	s_mov_b64 s[20:21], 0
	s_mov_b64 s[0:1], s[12:13]
	s_branch .LBB8_383
.LBB8_299:
	s_mov_b64 s[20:21], -1
	s_mov_b64 s[0:1], 0
	s_mov_b64 s[18:19], s[14:15]
                                        ; implicit-def: $vgpr2_vgpr3
	s_branch .LBB8_432
.LBB8_300:
	s_mov_b64 s[24:25], -1
	s_mov_b64 s[20:21], 0
	s_mov_b64 s[0:1], s[12:13]
	s_branch .LBB8_341
.LBB8_301:
	s_mov_b64 s[20:21], -1
	s_mov_b64 s[0:1], 0
	s_mov_b64 s[18:19], s[14:15]
                                        ; implicit-def: $vgpr2_vgpr3
	s_branch .LBB8_427
.LBB8_302:
	s_mov_b64 s[24:25], -1
	s_mov_b64 s[20:21], 0
	s_mov_b64 s[0:1], s[12:13]
	s_branch .LBB8_324
.LBB8_303:
	s_andn2_saveexec_b64 s[22:23], s[22:23]
	s_cbranch_execz .LBB8_67
.LBB8_304:
	s_mov_b32 s26, 0x46000000
	v_add_f32_e64 v3, |v2|, s26
	v_and_b32_e32 v3, 0xff, v3
	v_cmp_ne_u32_e32 vcc, 0, v3
	s_andn2_b64 s[18:19], s[18:19], exec
	s_and_b64 s[26:27], vcc, exec
	s_or_b64 s[18:19], s[18:19], s[26:27]
	s_or_b64 exec, exec, s[22:23]
	v_mov_b32_e32 v6, 0
	s_and_saveexec_b64 s[22:23], s[18:19]
	s_cbranch_execnz .LBB8_68
	s_branch .LBB8_69
.LBB8_305:
	s_mov_b64 s[20:21], -1
	s_mov_b64 s[0:1], 0
	s_mov_b64 s[18:19], s[14:15]
                                        ; implicit-def: $vgpr2_vgpr3
	s_branch .LBB8_310
.LBB8_306:
	s_mov_b64 s[24:25], -1
	s_mov_b64 s[20:21], 0
	s_mov_b64 s[0:1], s[12:13]
	s_branch .LBB8_320
.LBB8_307:
	s_andn2_saveexec_b64 s[22:23], s[22:23]
	s_cbranch_execz .LBB8_80
.LBB8_308:
	s_mov_b32 s26, 0x42800000
	v_add_f32_e64 v3, |v2|, s26
	v_and_b32_e32 v3, 0xff, v3
	v_cmp_ne_u32_e32 vcc, 0, v3
	s_andn2_b64 s[18:19], s[18:19], exec
	s_and_b64 s[26:27], vcc, exec
	s_or_b64 s[18:19], s[18:19], s[26:27]
	s_or_b64 exec, exec, s[22:23]
	v_mov_b32_e32 v6, 0
	s_and_saveexec_b64 s[22:23], s[18:19]
	s_cbranch_execnz .LBB8_81
	s_branch .LBB8_82
.LBB8_309:
	s_mov_b64 s[18:19], -1
                                        ; implicit-def: $vgpr2_vgpr3
	s_mov_b64 s[0:1], 0
.LBB8_310:
	s_and_b64 vcc, exec, s[20:21]
	s_cbranch_vccz .LBB8_426
; %bb.311:
	s_cmp_eq_u32 s26, 44
	s_cbranch_scc0 .LBB8_425
; %bb.312:
	global_load_ubyte v4, v[0:1], off
	s_movk_i32 s18, 0xff
	v_bfrev_b32_e32 v5, 4
	v_mov_b32_e32 v6, 0x7ff80000
	v_bfrev_b32_e32 v7, 28
	s_mov_b64 s[0:1], -1
	s_waitcnt vmcnt(0)
	v_lshlrev_b32_e32 v2, 23, v4
	v_cvt_f64_f32_e32 v[2:3], v2
	v_cmp_ne_u32_e32 vcc, s18, v4
	s_mov_b64 s[18:19], 0
	s_nop 0
	v_cndmask_b32_e32 v2, v5, v2, vcc
	v_cndmask_b32_e32 v3, v6, v3, vcc
	v_cmp_ne_u32_e32 vcc, 0, v4
	s_nop 1
	v_cndmask_b32_e32 v3, v7, v3, vcc
	v_cndmask_b32_e32 v2, 0, v2, vcc
	s_branch .LBB8_426
.LBB8_313:
	s_mov_b64 s[24:25], -1
	s_mov_b64 s[20:21], 0
	s_mov_b64 s[0:1], s[12:13]
.LBB8_314:
	s_and_b64 vcc, exec, s[24:25]
	s_cbranch_vccz .LBB8_319
; %bb.315:
	s_cmp_eq_u32 s29, 44
	s_mov_b64 s[0:1], -1
	s_cbranch_scc0 .LBB8_319
; %bb.316:
	v_cvt_f32_f64_e32 v2, v[0:1]
	v_bfe_u32 v3, v2, 23, 8
	s_movk_i32 s0, 0xff
	v_cmp_ne_u32_e32 vcc, s0, v3
	v_mov_b32_e32 v6, 0xff
	s_and_saveexec_b64 s[20:21], vcc
; %bb.317:
	s_mov_b32 s0, 0x3fffff
	v_lshrrev_b32_e32 v6, 23, v2
	v_and_b32_e32 v7, 0x400000, v2
	v_and_or_b32 v2, v2, s0, v3
	v_cmp_ne_u32_e32 vcc, 0, v7
	v_cmp_ne_u32_e64 s[0:1], 0, v2
	s_and_b64 s[0:1], vcc, s[0:1]
	s_nop 0
	v_cndmask_b32_e64 v2, 0, 1, s[0:1]
	v_add_u32_e32 v6, v6, v2
; %bb.318:
	s_or_b64 exec, exec, s[20:21]
	s_mov_b64 s[20:21], -1
	s_mov_b64 s[0:1], 0
	global_store_byte v[4:5], v6, off
.LBB8_319:
	s_mov_b64 s[24:25], 0
.LBB8_320:
	s_and_b64 vcc, exec, s[24:25]
	s_cbranch_vccz .LBB8_323
; %bb.321:
	s_cmp_eq_u32 s29, 29
	s_mov_b64 s[0:1], -1
	s_cbranch_scc0 .LBB8_323
; %bb.322:
	v_trunc_f64_e32 v[2:3], v[0:1]
	s_movk_i32 s0, 0xffe0
	v_ldexp_f64 v[6:7], v[2:3], s0
	v_floor_f64_e32 v[6:7], v[6:7]
	v_fmac_f64_e32 v[2:3], 0xc1f00000, v[6:7]
	v_cvt_u32_f64_e32 v9, v[6:7]
	v_cvt_u32_f64_e32 v8, v[2:3]
	global_store_dwordx2 v[4:5], v[8:9], off
	s_mov_b64 s[20:21], -1
	s_mov_b64 s[0:1], 0
.LBB8_323:
	s_mov_b64 s[24:25], 0
.LBB8_324:
	s_and_b64 vcc, exec, s[24:25]
	s_cbranch_vccz .LBB8_340
; %bb.325:
	s_cmp_lt_i32 s29, 27
	s_mov_b64 s[20:21], -1
	s_cbranch_scc1 .LBB8_331
; %bb.326:
	s_cmp_gt_i32 s29, 27
	v_cvt_u32_f64_e32 v2, v[0:1]
	s_cbranch_scc0 .LBB8_328
; %bb.327:
	s_mov_b64 s[20:21], 0
	global_store_dword v[4:5], v2, off
.LBB8_328:
	s_andn2_b64 vcc, exec, s[20:21]
	s_cbranch_vccnz .LBB8_330
; %bb.329:
	global_store_short v[4:5], v2, off
.LBB8_330:
	s_mov_b64 s[20:21], 0
.LBB8_331:
	s_andn2_b64 vcc, exec, s[20:21]
	s_cbranch_vccnz .LBB8_339
; %bb.332:
	v_cvt_f32_f64_e32 v2, v[0:1]
	v_and_b32_e32 v3, 0x7fffffff, v2
	s_mov_b32 s20, 0x43800000
	v_cmp_gt_u32_e32 vcc, s20, v3
	v_mov_b32_e32 v6, 0x80
	s_and_saveexec_b64 s[20:21], vcc
	s_cbranch_execz .LBB8_338
; %bb.333:
	s_mov_b32 s24, 0x3bffffff
	v_cmp_lt_u32_e32 vcc, s24, v3
	s_mov_b64 s[24:25], 0
                                        ; implicit-def: $vgpr3
	s_and_saveexec_b64 s[26:27], vcc
	s_xor_b64 s[26:27], exec, s[26:27]
	s_cbranch_execz .LBB8_550
; %bb.334:
	v_bfe_u32 v3, v2, 20, 1
	s_mov_b32 s30, 0x487ffff
	v_add3_u32 v3, v2, v3, s30
	s_mov_b64 s[24:25], exec
	v_lshrrev_b32_e32 v3, 20, v3
	s_andn2_saveexec_b64 s[26:27], s[26:27]
	s_cbranch_execnz .LBB8_551
.LBB8_335:
	s_or_b64 exec, exec, s[26:27]
	v_mov_b32_e32 v6, 0
	s_and_saveexec_b64 s[26:27], s[24:25]
.LBB8_336:
	v_lshrrev_b32_e32 v2, 24, v2
	s_movk_i32 s24, 0x80
	v_and_or_b32 v6, v2, s24, v3
.LBB8_337:
	s_or_b64 exec, exec, s[26:27]
.LBB8_338:
	s_or_b64 exec, exec, s[20:21]
	global_store_byte v[4:5], v6, off
.LBB8_339:
	s_mov_b64 s[20:21], -1
.LBB8_340:
	s_mov_b64 s[24:25], 0
.LBB8_341:
	s_and_b64 vcc, exec, s[24:25]
	s_cbranch_vccz .LBB8_382
; %bb.342:
	s_cmp_gt_i32 s29, 22
	s_mov_b64 s[24:25], -1
	s_cbranch_scc0 .LBB8_374
; %bb.343:
	s_cmp_lt_i32 s29, 24
	s_mov_b64 s[20:21], -1
	s_cbranch_scc1 .LBB8_363
; %bb.344:
	s_cmp_gt_i32 s29, 24
	s_cbranch_scc0 .LBB8_352
; %bb.345:
	v_cvt_f32_f64_e32 v2, v[0:1]
	v_and_b32_e32 v3, 0x7fffffff, v2
	s_mov_b32 s20, 0x47800000
	v_cmp_gt_u32_e32 vcc, s20, v3
	v_mov_b32_e32 v6, 0x80
	s_and_saveexec_b64 s[20:21], vcc
	s_cbranch_execz .LBB8_351
; %bb.346:
	s_mov_b32 s24, 0x37ffffff
	v_cmp_lt_u32_e32 vcc, s24, v3
	s_mov_b64 s[24:25], 0
                                        ; implicit-def: $vgpr3
	s_and_saveexec_b64 s[26:27], vcc
	s_xor_b64 s[26:27], exec, s[26:27]
	s_cbranch_execz .LBB8_553
; %bb.347:
	v_bfe_u32 v3, v2, 21, 1
	s_mov_b32 s30, 0x88fffff
	v_add3_u32 v3, v2, v3, s30
	s_mov_b64 s[24:25], exec
	v_lshrrev_b32_e32 v3, 21, v3
	s_andn2_saveexec_b64 s[26:27], s[26:27]
	s_cbranch_execnz .LBB8_554
.LBB8_348:
	s_or_b64 exec, exec, s[26:27]
	v_mov_b32_e32 v6, 0
	s_and_saveexec_b64 s[26:27], s[24:25]
.LBB8_349:
	v_lshrrev_b32_e32 v2, 24, v2
	s_movk_i32 s24, 0x80
	v_and_or_b32 v6, v2, s24, v3
.LBB8_350:
	s_or_b64 exec, exec, s[26:27]
.LBB8_351:
	s_or_b64 exec, exec, s[20:21]
	s_mov_b64 s[20:21], 0
	global_store_byte v[4:5], v6, off
.LBB8_352:
	s_and_b64 vcc, exec, s[20:21]
	s_cbranch_vccz .LBB8_362
; %bb.353:
	v_cvt_f32_f64_e32 v2, v[0:1]
	v_and_b32_e32 v6, 0x7fffffff, v2
	s_mov_b32 s20, 0x43f00000
	v_cmp_gt_u32_e32 vcc, s20, v6
                                        ; implicit-def: $vgpr3
	s_and_saveexec_b64 s[20:21], vcc
	s_xor_b64 s[20:21], exec, s[20:21]
	s_cbranch_execz .LBB8_359
; %bb.354:
	s_mov_b32 s24, 0x3c7fffff
	v_cmp_lt_u32_e32 vcc, s24, v6
                                        ; implicit-def: $vgpr3
	s_and_saveexec_b64 s[24:25], vcc
	s_xor_b64 s[24:25], exec, s[24:25]
; %bb.355:
	v_bfe_u32 v3, v2, 20, 1
	s_mov_b32 s26, 0x407ffff
	v_add3_u32 v3, v2, v3, s26
	v_lshrrev_b32_e32 v6, 20, v3
	v_and_b32_e32 v3, 0xff00000, v3
	s_mov_b32 s26, 0x7f00000
	v_mov_b32_e32 v7, 0x7e
	v_cmp_ne_u32_e32 vcc, s26, v3
	s_nop 1
	v_cndmask_b32_e32 v3, v7, v6, vcc
; %bb.356:
	s_andn2_saveexec_b64 s[24:25], s[24:25]
; %bb.357:
	s_mov_b32 s26, 0x46800000
	v_add_f32_e64 v3, |v2|, s26
; %bb.358:
	s_or_b64 exec, exec, s[24:25]
                                        ; implicit-def: $vgpr6
.LBB8_359:
	s_andn2_saveexec_b64 s[20:21], s[20:21]
; %bb.360:
	s_mov_b32 s24, 0x7f800000
	v_mov_b32_e32 v3, 0x7e
	v_mov_b32_e32 v7, 0x7f
	v_cmp_lt_u32_e32 vcc, s24, v6
	s_nop 1
	v_cndmask_b32_e32 v3, v3, v7, vcc
; %bb.361:
	s_or_b64 exec, exec, s[20:21]
	v_lshrrev_b32_e32 v2, 24, v2
	s_movk_i32 s20, 0x80
	v_and_or_b32 v2, v2, s20, v3
	global_store_byte v[4:5], v2, off
.LBB8_362:
	s_mov_b64 s[20:21], 0
.LBB8_363:
	s_andn2_b64 vcc, exec, s[20:21]
	s_cbranch_vccnz .LBB8_373
; %bb.364:
	v_cvt_f32_f64_e32 v2, v[0:1]
	v_and_b32_e32 v6, 0x7fffffff, v2
	s_mov_b32 s20, 0x47800000
	v_cmp_gt_u32_e32 vcc, s20, v6
                                        ; implicit-def: $vgpr3
	s_and_saveexec_b64 s[20:21], vcc
	s_xor_b64 s[20:21], exec, s[20:21]
	s_cbranch_execz .LBB8_370
; %bb.365:
	s_mov_b32 s24, 0x387fffff
	v_cmp_lt_u32_e32 vcc, s24, v6
                                        ; implicit-def: $vgpr3
	s_and_saveexec_b64 s[24:25], vcc
	s_xor_b64 s[24:25], exec, s[24:25]
; %bb.366:
	v_bfe_u32 v3, v2, 21, 1
	s_mov_b32 s26, 0x80fffff
	v_add3_u32 v3, v2, v3, s26
	v_lshrrev_b32_e32 v3, 21, v3
; %bb.367:
	s_andn2_saveexec_b64 s[24:25], s[24:25]
; %bb.368:
	s_mov_b32 s26, 0x43000000
	v_add_f32_e64 v3, |v2|, s26
; %bb.369:
	s_or_b64 exec, exec, s[24:25]
                                        ; implicit-def: $vgpr6
.LBB8_370:
	s_andn2_saveexec_b64 s[20:21], s[20:21]
; %bb.371:
	s_mov_b32 s24, 0x7f800000
	v_mov_b32_e32 v3, 0x7c
	v_mov_b32_e32 v7, 0x7f
	v_cmp_lt_u32_e32 vcc, s24, v6
	s_nop 1
	v_cndmask_b32_e32 v3, v3, v7, vcc
; %bb.372:
	s_or_b64 exec, exec, s[20:21]
	v_lshrrev_b32_e32 v2, 24, v2
	s_movk_i32 s20, 0x80
	v_and_or_b32 v2, v2, s20, v3
	global_store_byte v[4:5], v2, off
.LBB8_373:
	s_mov_b64 s[24:25], 0
	s_mov_b64 s[20:21], -1
.LBB8_374:
	s_andn2_b64 vcc, exec, s[24:25]
	s_cbranch_vccnz .LBB8_382
; %bb.375:
	s_cmp_gt_i32 s29, 14
	s_mov_b64 s[24:25], -1
	s_cbranch_scc0 .LBB8_379
; %bb.376:
	s_cmp_eq_u32 s29, 15
	s_mov_b64 s[0:1], -1
	s_cbranch_scc0 .LBB8_378
; %bb.377:
	v_cvt_f32_f64_e32 v2, v[0:1]
	v_bfe_u32 v3, v2, 16, 1
	s_movk_i32 s0, 0x7fff
	v_add3_u32 v3, v2, v3, s0
	v_cmp_o_f32_e32 vcc, v2, v2
	v_mov_b32_e32 v2, 0x7fc0
	s_mov_b64 s[20:21], -1
	v_cndmask_b32_sdwa v2, v2, v3, vcc dst_sel:DWORD dst_unused:UNUSED_PAD src0_sel:DWORD src1_sel:WORD_1
	global_store_short v[4:5], v2, off
	s_mov_b64 s[0:1], 0
.LBB8_378:
	s_mov_b64 s[24:25], 0
.LBB8_379:
	s_and_b64 vcc, exec, s[24:25]
	s_cbranch_vccz .LBB8_382
; %bb.380:
	s_cmp_eq_u32 s29, 11
	s_mov_b64 s[0:1], -1
	s_cbranch_scc0 .LBB8_382
; %bb.381:
	v_cmp_neq_f64_e32 vcc, 0, v[0:1]
	s_mov_b64 s[0:1], 0
	s_mov_b64 s[20:21], -1
	v_cndmask_b32_e64 v2, 0, 1, vcc
	global_store_byte v[4:5], v2, off
.LBB8_382:
	s_mov_b64 s[24:25], 0
.LBB8_383:
	s_and_b64 vcc, exec, s[24:25]
	s_cbranch_vccz .LBB8_422
; %bb.384:
	s_and_b32 s24, 0xffff, s28
	s_cmp_lt_i32 s24, 5
	s_mov_b64 s[20:21], -1
	s_cbranch_scc1 .LBB8_405
; %bb.385:
	s_cmp_lt_i32 s24, 8
	s_cbranch_scc1 .LBB8_395
; %bb.386:
	s_cmp_lt_i32 s24, 9
	s_cbranch_scc1 .LBB8_392
; %bb.387:
	s_cmp_gt_i32 s24, 9
	s_cbranch_scc0 .LBB8_389
; %bb.388:
	v_mov_b32_e32 v2, 0
	v_mov_b32_e32 v3, v2
	s_mov_b64 s[20:21], 0
	global_store_dwordx4 v[4:5], v[0:3], off
.LBB8_389:
	s_andn2_b64 vcc, exec, s[20:21]
	s_cbranch_vccnz .LBB8_391
; %bb.390:
	v_cvt_f32_f64_e32 v2, v[0:1]
	v_mov_b32_e32 v3, 0
	global_store_dwordx2 v[4:5], v[2:3], off
.LBB8_391:
	s_mov_b64 s[20:21], 0
.LBB8_392:
	s_andn2_b64 vcc, exec, s[20:21]
	s_cbranch_vccnz .LBB8_394
; %bb.393:
	s_movk_i32 s20, 0x1ff
	v_and_or_b32 v2, v1, s20, v0
	v_cmp_ne_u32_e32 vcc, 0, v2
	v_lshrrev_b32_e32 v3, 8, v1
	s_movk_i32 s20, 0xffe
	v_cndmask_b32_e64 v2, 0, 1, vcc
	v_bfe_u32 v6, v1, 20, 11
	v_and_or_b32 v2, v3, s20, v2
	v_sub_u32_e32 v7, 0x3f1, v6
	v_or_b32_e32 v3, 0x1000, v2
	v_med3_i32 v7, v7, 0, 13
	v_lshrrev_b32_e32 v8, v7, v3
	v_lshlrev_b32_e32 v7, v7, v8
	v_cmp_ne_u32_e32 vcc, v7, v3
	v_add_u32_e32 v6, 0xfffffc10, v6
	v_lshl_or_b32 v7, v6, 12, v2
	v_cndmask_b32_e64 v3, 0, 1, vcc
	v_or_b32_e32 v3, v8, v3
	v_cmp_gt_i32_e32 vcc, 1, v6
	s_movk_i32 s20, 0x40f
	s_nop 0
	v_cndmask_b32_e32 v3, v7, v3, vcc
	v_and_b32_e32 v7, 7, v3
	v_cmp_lt_i32_e32 vcc, 5, v7
	v_lshrrev_b32_e32 v3, 2, v3
	s_nop 0
	v_cndmask_b32_e64 v8, 0, 1, vcc
	v_cmp_eq_u32_e32 vcc, 3, v7
	s_nop 1
	v_cndmask_b32_e64 v7, 0, 1, vcc
	v_or_b32_e32 v7, v7, v8
	v_add_u32_e32 v3, v3, v7
	v_mov_b32_e32 v7, 0x7c00
	v_cmp_gt_i32_e32 vcc, 31, v6
	v_mov_b32_e32 v8, 0x7e00
	s_nop 0
	v_cndmask_b32_e32 v3, v7, v3, vcc
	v_cmp_ne_u32_e32 vcc, 0, v2
	s_nop 1
	v_cndmask_b32_e32 v2, v7, v8, vcc
	v_cmp_eq_u32_e32 vcc, s20, v6
	s_mov_b32 s20, 0x8000
	s_nop 0
	v_cndmask_b32_e32 v2, v3, v2, vcc
	v_and_b32_sdwa v3, v1, s20 dst_sel:DWORD dst_unused:UNUSED_PAD src0_sel:WORD_1 src1_sel:DWORD
	s_mov_b32 s20, 0xffff
	v_bitop3_b32 v2, v3, s20, v2 bitop3:0xc8
	global_store_dword v[4:5], v2, off
.LBB8_394:
	s_mov_b64 s[20:21], 0
.LBB8_395:
	s_andn2_b64 vcc, exec, s[20:21]
	s_cbranch_vccnz .LBB8_404
; %bb.396:
	s_cmp_lt_i32 s24, 6
	s_mov_b64 s[20:21], -1
	s_cbranch_scc1 .LBB8_402
; %bb.397:
	s_cmp_gt_i32 s24, 6
	s_cbranch_scc0 .LBB8_399
; %bb.398:
	s_mov_b64 s[20:21], 0
	global_store_dwordx2 v[4:5], v[0:1], off
.LBB8_399:
	s_andn2_b64 vcc, exec, s[20:21]
	s_cbranch_vccnz .LBB8_401
; %bb.400:
	v_cvt_f32_f64_e32 v2, v[0:1]
	global_store_dword v[4:5], v2, off
.LBB8_401:
	s_mov_b64 s[20:21], 0
.LBB8_402:
	s_andn2_b64 vcc, exec, s[20:21]
	s_cbranch_vccnz .LBB8_404
; %bb.403:
	s_movk_i32 s20, 0x1ff
	v_and_or_b32 v2, v1, s20, v0
	v_cmp_ne_u32_e32 vcc, 0, v2
	v_lshrrev_b32_e32 v3, 8, v1
	s_movk_i32 s20, 0xffe
	v_cndmask_b32_e64 v2, 0, 1, vcc
	v_bfe_u32 v6, v1, 20, 11
	v_and_or_b32 v2, v3, s20, v2
	v_sub_u32_e32 v7, 0x3f1, v6
	v_or_b32_e32 v3, 0x1000, v2
	v_med3_i32 v7, v7, 0, 13
	v_lshrrev_b32_e32 v8, v7, v3
	v_lshlrev_b32_e32 v7, v7, v8
	v_cmp_ne_u32_e32 vcc, v7, v3
	v_add_u32_e32 v6, 0xfffffc10, v6
	v_lshl_or_b32 v7, v6, 12, v2
	v_cndmask_b32_e64 v3, 0, 1, vcc
	v_or_b32_e32 v3, v8, v3
	v_cmp_gt_i32_e32 vcc, 1, v6
	s_movk_i32 s20, 0x40f
	s_nop 0
	v_cndmask_b32_e32 v3, v7, v3, vcc
	v_and_b32_e32 v7, 7, v3
	v_cmp_lt_i32_e32 vcc, 5, v7
	v_lshrrev_b32_e32 v3, 2, v3
	s_nop 0
	v_cndmask_b32_e64 v8, 0, 1, vcc
	v_cmp_eq_u32_e32 vcc, 3, v7
	s_nop 1
	v_cndmask_b32_e64 v7, 0, 1, vcc
	v_or_b32_e32 v7, v7, v8
	v_add_u32_e32 v3, v3, v7
	v_mov_b32_e32 v7, 0x7c00
	v_cmp_gt_i32_e32 vcc, 31, v6
	v_mov_b32_e32 v8, 0x7e00
	s_nop 0
	v_cndmask_b32_e32 v3, v7, v3, vcc
	v_cmp_ne_u32_e32 vcc, 0, v2
	s_nop 1
	v_cndmask_b32_e32 v2, v7, v8, vcc
	v_cmp_eq_u32_e32 vcc, s20, v6
	s_mov_b32 s20, 0x8000
	s_nop 0
	v_cndmask_b32_e32 v2, v3, v2, vcc
	v_lshrrev_b32_e32 v3, 16, v1
	v_and_or_b32 v2, v3, s20, v2
	global_store_short v[4:5], v2, off
.LBB8_404:
	s_mov_b64 s[20:21], 0
.LBB8_405:
	s_andn2_b64 vcc, exec, s[20:21]
	s_cbranch_vccnz .LBB8_421
; %bb.406:
	s_cmp_lt_i32 s24, 2
	s_mov_b64 s[20:21], -1
	s_cbranch_scc1 .LBB8_416
; %bb.407:
	s_cmp_lt_i32 s24, 3
	s_cbranch_scc1 .LBB8_413
; %bb.408:
	s_cmp_gt_i32 s24, 3
	s_cbranch_scc0 .LBB8_410
; %bb.409:
	v_trunc_f64_e32 v[2:3], v[0:1]
	s_movk_i32 s20, 0xffe0
	v_ldexp_f64 v[6:7], v[2:3], s20
	v_floor_f64_e32 v[6:7], v[6:7]
	v_fmac_f64_e32 v[2:3], 0xc1f00000, v[6:7]
	v_cvt_i32_f64_e32 v9, v[6:7]
	v_cvt_u32_f64_e32 v8, v[2:3]
	s_mov_b64 s[20:21], 0
	global_store_dwordx2 v[4:5], v[8:9], off
.LBB8_410:
	s_andn2_b64 vcc, exec, s[20:21]
	s_cbranch_vccnz .LBB8_412
; %bb.411:
	v_cvt_i32_f64_e32 v2, v[0:1]
	global_store_dword v[4:5], v2, off
.LBB8_412:
	s_mov_b64 s[20:21], 0
.LBB8_413:
	s_andn2_b64 vcc, exec, s[20:21]
	s_cbranch_vccnz .LBB8_415
; %bb.414:
	v_cvt_i32_f64_e32 v2, v[0:1]
	global_store_short v[4:5], v2, off
.LBB8_415:
	s_mov_b64 s[20:21], 0
.LBB8_416:
	s_andn2_b64 vcc, exec, s[20:21]
	s_cbranch_vccnz .LBB8_421
; %bb.417:
	s_cmp_gt_i32 s24, 0
	s_mov_b64 s[20:21], -1
	s_cbranch_scc0 .LBB8_419
; %bb.418:
	v_cvt_i32_f64_e32 v2, v[0:1]
	s_mov_b64 s[20:21], 0
	global_store_byte v[4:5], v2, off
.LBB8_419:
	s_andn2_b64 vcc, exec, s[20:21]
	s_cbranch_vccnz .LBB8_421
; %bb.420:
	v_trunc_f64_e32 v[0:1], v[0:1]
	s_movk_i32 s20, 0xffe0
	v_ldexp_f64 v[2:3], v[0:1], s20
	v_floor_f64_e32 v[2:3], v[2:3]
	v_fmac_f64_e32 v[0:1], 0xc1f00000, v[2:3]
	v_cvt_u32_f64_e32 v0, v[0:1]
	global_store_byte v[4:5], v0, off
.LBB8_421:
	s_mov_b64 s[20:21], -1
.LBB8_422:
	s_andn2_b64 vcc, exec, s[20:21]
	s_cbranch_vccnz .LBB8_424
; %bb.423:
	v_add_u32_e32 v14, 0x80, v14
	s_mov_b64 s[24:25], -1
	s_branch .LBB8_536
.LBB8_424:
	s_mov_b64 s[24:25], 0
                                        ; implicit-def: $vgpr14
	s_branch .LBB8_536
.LBB8_425:
	s_mov_b64 s[18:19], -1
                                        ; implicit-def: $vgpr2_vgpr3
.LBB8_426:
	s_mov_b64 s[20:21], 0
.LBB8_427:
	s_and_b64 vcc, exec, s[20:21]
	s_cbranch_vccz .LBB8_431
; %bb.428:
	s_cmp_eq_u32 s26, 29
	s_cbranch_scc0 .LBB8_430
; %bb.429:
	global_load_dwordx2 v[2:3], v[0:1], off
	s_mov_b64 s[0:1], -1
	s_mov_b64 s[18:19], 0
	s_mov_b64 s[20:21], 0
	s_waitcnt vmcnt(0)
	v_cvt_f64_u32_e32 v[4:5], v3
	v_cvt_f64_u32_e32 v[2:3], v2
	v_ldexp_f64 v[4:5], v[4:5], 32
	v_add_f64 v[2:3], v[4:5], v[2:3]
	s_branch .LBB8_432
.LBB8_430:
	s_mov_b64 s[18:19], -1
                                        ; implicit-def: $vgpr2_vgpr3
.LBB8_431:
	s_mov_b64 s[20:21], 0
.LBB8_432:
	s_and_b64 vcc, exec, s[20:21]
	s_cbranch_vccz .LBB8_452
; %bb.433:
	s_cmp_lt_i32 s26, 27
	s_cbranch_scc1 .LBB8_436
; %bb.434:
	s_cmp_gt_i32 s26, 27
	s_cbranch_scc0 .LBB8_437
; %bb.435:
	global_load_dword v2, v[0:1], off
	s_mov_b64 s[0:1], 0
	s_waitcnt vmcnt(0)
	v_cvt_f64_u32_e32 v[2:3], v2
	s_branch .LBB8_438
.LBB8_436:
	s_mov_b64 s[0:1], -1
                                        ; implicit-def: $vgpr2_vgpr3
	s_branch .LBB8_441
.LBB8_437:
	s_mov_b64 s[0:1], -1
                                        ; implicit-def: $vgpr2_vgpr3
.LBB8_438:
	s_andn2_b64 vcc, exec, s[0:1]
	s_cbranch_vccnz .LBB8_440
; %bb.439:
	global_load_ushort v2, v[0:1], off
	s_waitcnt vmcnt(0)
	v_cvt_f64_u32_e32 v[2:3], v2
.LBB8_440:
	s_mov_b64 s[0:1], 0
.LBB8_441:
	s_andn2_b64 vcc, exec, s[0:1]
	s_cbranch_vccnz .LBB8_451
; %bb.442:
	global_load_ubyte v4, v[0:1], off
	s_movk_i32 s0, 0x7f
	s_waitcnt vmcnt(0)
	v_cmp_lt_i16_e32 vcc, s0, v4
	s_mov_b64 s[0:1], 0
	s_and_saveexec_b64 s[20:21], vcc
	s_xor_b64 s[20:21], exec, s[20:21]
	s_cbranch_execz .LBB8_446
; %bb.443:
	s_movk_i32 s0, 0x80
	v_cmp_eq_u16_e32 vcc, s0, v4
	s_mov_b64 s[0:1], -1
	s_and_saveexec_b64 s[24:25], vcc
; %bb.444:
	s_xor_b64 s[0:1], exec, -1
; %bb.445:
	s_or_b64 exec, exec, s[24:25]
	s_and_b64 s[0:1], s[0:1], exec
.LBB8_446:
	s_or_saveexec_b64 s[20:21], s[20:21]
	v_bfrev_b32_e32 v2, 4
	v_mov_b32_e32 v3, 0x7ff80000
	s_xor_b64 exec, exec, s[20:21]
; %bb.447:
	v_cmp_ne_u16_e32 vcc, 0, v4
	s_andn2_b64 s[0:1], s[0:1], exec
	s_and_b64 s[24:25], vcc, exec
	v_mov_b64_e32 v[2:3], 0
	s_or_b64 s[0:1], s[0:1], s[24:25]
; %bb.448:
	s_or_b64 exec, exec, s[20:21]
	s_and_saveexec_b64 s[20:21], s[0:1]
	s_cbranch_execz .LBB8_450
; %bb.449:
	v_and_b32_e32 v3, 0xffff, v4
	v_lshlrev_b32_e32 v2, 24, v4
	v_and_b32_e32 v4, 7, v3
	v_ffbh_u32_e32 v6, v4
	v_min_u32_e32 v6, 32, v6
	v_subrev_u32_e32 v7, 28, v6
	v_bfe_u32 v5, v3, 3, 4
	v_lshlrev_b32_e32 v3, v7, v3
	v_sub_u32_e32 v6, 29, v6
	v_and_b32_e32 v3, 7, v3
	v_cmp_eq_u32_e32 vcc, 0, v5
	v_and_b32_e32 v2, 0x80000000, v2
	s_nop 0
	v_cndmask_b32_e32 v5, v5, v6, vcc
	v_cndmask_b32_e32 v3, v4, v3, vcc
	v_mov_b32_e32 v4, 0x3b800000
	v_lshlrev_b32_e32 v3, 20, v3
	v_lshl_add_u32 v4, v5, 23, v4
	v_or3_b32 v2, v2, v4, v3
	v_cvt_f64_f32_e32 v[2:3], v2
.LBB8_450:
	s_or_b64 exec, exec, s[20:21]
.LBB8_451:
	s_mov_b64 s[0:1], -1
.LBB8_452:
	s_mov_b64 s[20:21], 0
.LBB8_453:
	s_and_b64 vcc, exec, s[20:21]
	s_cbranch_vccz .LBB8_486
; %bb.454:
	s_cmp_gt_i32 s26, 22
	s_cbranch_scc0 .LBB8_466
; %bb.455:
	s_cmp_lt_i32 s26, 24
	s_cbranch_scc1 .LBB8_467
; %bb.456:
	s_cmp_gt_i32 s26, 24
	s_cbranch_scc0 .LBB8_468
; %bb.457:
	global_load_ubyte v4, v[0:1], off
	s_movk_i32 s0, 0x7f
	s_waitcnt vmcnt(0)
	v_cmp_lt_i16_e32 vcc, s0, v4
	s_mov_b64 s[0:1], 0
	s_and_saveexec_b64 s[20:21], vcc
	s_xor_b64 s[20:21], exec, s[20:21]
	s_cbranch_execz .LBB8_461
; %bb.458:
	s_movk_i32 s0, 0x80
	v_cmp_eq_u16_e32 vcc, s0, v4
	s_mov_b64 s[0:1], -1
	s_and_saveexec_b64 s[24:25], vcc
; %bb.459:
	s_xor_b64 s[0:1], exec, -1
; %bb.460:
	s_or_b64 exec, exec, s[24:25]
	s_and_b64 s[0:1], s[0:1], exec
.LBB8_461:
	s_or_saveexec_b64 s[20:21], s[20:21]
	v_bfrev_b32_e32 v2, 4
	v_mov_b32_e32 v3, 0x7ff80000
	s_xor_b64 exec, exec, s[20:21]
; %bb.462:
	v_cmp_ne_u16_e32 vcc, 0, v4
	s_andn2_b64 s[0:1], s[0:1], exec
	s_and_b64 s[24:25], vcc, exec
	v_mov_b64_e32 v[2:3], 0
	s_or_b64 s[0:1], s[0:1], s[24:25]
; %bb.463:
	s_or_b64 exec, exec, s[20:21]
	s_and_saveexec_b64 s[20:21], s[0:1]
	s_cbranch_execz .LBB8_465
; %bb.464:
	v_and_b32_e32 v3, 0xffff, v4
	v_lshlrev_b32_e32 v2, 24, v4
	v_and_b32_e32 v4, 3, v3
	v_ffbh_u32_e32 v6, v4
	v_min_u32_e32 v6, 32, v6
	v_subrev_u32_e32 v7, 29, v6
	v_bfe_u32 v5, v3, 2, 5
	v_lshlrev_b32_e32 v3, v7, v3
	v_sub_u32_e32 v6, 30, v6
	v_and_b32_e32 v3, 3, v3
	v_cmp_eq_u32_e32 vcc, 0, v5
	v_and_b32_e32 v2, 0x80000000, v2
	s_nop 0
	v_cndmask_b32_e32 v5, v5, v6, vcc
	v_cndmask_b32_e32 v3, v4, v3, vcc
	v_mov_b32_e32 v4, 0x37800000
	v_lshlrev_b32_e32 v3, 21, v3
	v_lshl_add_u32 v4, v5, 23, v4
	v_or3_b32 v2, v2, v4, v3
	v_cvt_f64_f32_e32 v[2:3], v2
.LBB8_465:
	s_or_b64 exec, exec, s[20:21]
	s_mov_b64 s[0:1], 0
	s_branch .LBB8_469
.LBB8_466:
	s_mov_b64 s[20:21], -1
                                        ; implicit-def: $vgpr2_vgpr3
	s_branch .LBB8_475
.LBB8_467:
	s_mov_b64 s[0:1], -1
                                        ; implicit-def: $vgpr2_vgpr3
	s_branch .LBB8_472
.LBB8_468:
	s_mov_b64 s[0:1], -1
                                        ; implicit-def: $vgpr2_vgpr3
.LBB8_469:
	s_and_b64 vcc, exec, s[0:1]
	s_cbranch_vccz .LBB8_471
; %bb.470:
	global_load_ubyte v2, v[0:1], off
	s_mov_b32 s0, 0x7f800000
	s_waitcnt vmcnt(0)
	v_lshlrev_b32_e32 v2, 24, v2
	v_and_b32_e32 v3, 0x7f000000, v2
	v_ffbh_u32_e32 v4, v3
	v_min_u32_e32 v4, 32, v4
	v_sub_u32_e64 v4, v4, 4 clamp
	v_lshlrev_b32_e32 v6, v4, v3
	v_lshlrev_b32_e32 v4, 23, v4
	v_lshrrev_b32_e32 v6, 4, v6
	v_add_u32_e32 v5, 0x1000000, v3
	v_sub_u32_e32 v4, v6, v4
	v_ashrrev_i32_e32 v5, 8, v5
	v_add_u32_e32 v4, 0x3c000000, v4
	v_and_or_b32 v4, v5, s0, v4
	v_cmp_ne_u32_e32 vcc, 0, v3
	s_brev_b32 s0, 1
	s_nop 0
	v_cndmask_b32_e32 v3, 0, v4, vcc
	v_and_or_b32 v2, v2, s0, v3
	v_cvt_f64_f32_e32 v[2:3], v2
.LBB8_471:
	s_mov_b64 s[0:1], 0
.LBB8_472:
	s_andn2_b64 vcc, exec, s[0:1]
	s_cbranch_vccnz .LBB8_474
; %bb.473:
	global_load_ubyte v2, v[0:1], off
	s_movk_i32 s0, 0x7f00
	s_brev_b32 s1, 16
	s_waitcnt vmcnt(0)
	v_lshlrev_b16_e32 v3, 8, v2
	v_lshlrev_b32_e32 v2, 25, v2
	v_lshrrev_b32_e32 v4, 4, v2
	v_and_or_b32 v5, v3, s0, 0.5
	v_or_b32_e32 v4, 0x70000000, v4
	v_add_f32_e32 v5, -0.5, v5
	v_mul_f32_e32 v4, 0x7800000, v4
	v_cmp_gt_u32_e32 vcc, s1, v2
	v_bfe_i32 v3, v3, 0, 16
	s_brev_b32 s0, 1
	v_cndmask_b32_e32 v2, v4, v5, vcc
	v_and_or_b32 v2, v3, s0, v2
	v_cvt_f64_f32_e32 v[2:3], v2
.LBB8_474:
	s_mov_b64 s[20:21], 0
	s_mov_b64 s[0:1], -1
.LBB8_475:
	s_andn2_b64 vcc, exec, s[20:21]
	s_cbranch_vccnz .LBB8_486
; %bb.476:
	s_cmp_gt_i32 s26, 14
	s_cbranch_scc0 .LBB8_479
; %bb.477:
	s_cmp_eq_u32 s26, 15
	s_cbranch_scc0 .LBB8_480
; %bb.478:
	global_load_ushort v2, v[0:1], off
	s_mov_b64 s[0:1], -1
	s_mov_b64 s[18:19], 0
	s_waitcnt vmcnt(0)
	v_lshlrev_b32_e32 v2, 16, v2
	v_cvt_f64_f32_e32 v[2:3], v2
	s_branch .LBB8_481
.LBB8_479:
	s_mov_b64 s[20:21], -1
                                        ; implicit-def: $vgpr2_vgpr3
	s_branch .LBB8_482
.LBB8_480:
	s_mov_b64 s[18:19], -1
                                        ; implicit-def: $vgpr2_vgpr3
.LBB8_481:
	s_mov_b64 s[20:21], 0
.LBB8_482:
	s_and_b64 vcc, exec, s[20:21]
	s_cbranch_vccz .LBB8_486
; %bb.483:
	s_cmp_eq_u32 s26, 11
	s_cbranch_scc0 .LBB8_485
; %bb.484:
	global_load_ubyte v3, v[0:1], off
	v_mov_b32_e32 v4, 0x3ff00000
	s_waitcnt vmcnt(1)
	v_mov_b32_e32 v2, 0
	s_mov_b64 s[0:1], -1
	s_mov_b64 s[18:19], 0
	s_waitcnt vmcnt(0)
	v_cmp_ne_u16_e32 vcc, 0, v3
	s_nop 1
	v_cndmask_b32_e32 v3, 0, v4, vcc
	s_branch .LBB8_486
.LBB8_485:
	s_mov_b64 s[18:19], -1
                                        ; implicit-def: $vgpr2_vgpr3
.LBB8_486:
	s_branch .LBB8_277
.LBB8_487:
	s_cmp_lt_i32 s26, 5
	s_cbranch_scc1 .LBB8_492
; %bb.488:
	s_cmp_lt_i32 s26, 8
	s_cbranch_scc1 .LBB8_493
; %bb.489:
	;; [unrolled: 3-line block ×3, first 2 shown]
	s_cmp_gt_i32 s26, 9
	s_cbranch_scc0 .LBB8_495
; %bb.491:
	global_load_dwordx2 v[2:3], v[0:1], off
	s_mov_b64 s[0:1], 0
	s_branch .LBB8_496
.LBB8_492:
	s_mov_b64 s[0:1], -1
                                        ; implicit-def: $vgpr2_vgpr3
	s_branch .LBB8_514
.LBB8_493:
	s_mov_b64 s[0:1], -1
                                        ; implicit-def: $vgpr2_vgpr3
	s_branch .LBB8_502
.LBB8_494:
	s_mov_b64 s[0:1], -1
                                        ; implicit-def: $vgpr2_vgpr3
	s_branch .LBB8_499
.LBB8_495:
	s_mov_b64 s[0:1], -1
                                        ; implicit-def: $vgpr2_vgpr3
.LBB8_496:
	s_andn2_b64 vcc, exec, s[0:1]
	s_cbranch_vccnz .LBB8_498
; %bb.497:
	global_load_dword v2, v[0:1], off
	s_waitcnt vmcnt(0)
	v_cvt_f64_f32_e32 v[2:3], v2
.LBB8_498:
	s_mov_b64 s[0:1], 0
.LBB8_499:
	s_andn2_b64 vcc, exec, s[0:1]
	s_cbranch_vccnz .LBB8_501
; %bb.500:
	global_load_dword v2, v[0:1], off
	s_waitcnt vmcnt(0)
	v_cvt_f32_f16_e32 v2, v2
	v_cvt_f64_f32_e32 v[2:3], v2
.LBB8_501:
	s_mov_b64 s[0:1], 0
.LBB8_502:
	s_andn2_b64 vcc, exec, s[0:1]
	s_cbranch_vccnz .LBB8_513
; %bb.503:
	s_cmp_lt_i32 s26, 6
	s_cbranch_scc1 .LBB8_506
; %bb.504:
	s_cmp_gt_i32 s26, 6
	s_cbranch_scc0 .LBB8_507
; %bb.505:
	global_load_dwordx2 v[2:3], v[0:1], off
	s_mov_b64 s[0:1], 0
	s_branch .LBB8_508
.LBB8_506:
	s_mov_b64 s[0:1], -1
                                        ; implicit-def: $vgpr2_vgpr3
	s_branch .LBB8_511
.LBB8_507:
	s_mov_b64 s[0:1], -1
                                        ; implicit-def: $vgpr2_vgpr3
.LBB8_508:
	s_andn2_b64 vcc, exec, s[0:1]
	s_cbranch_vccnz .LBB8_510
; %bb.509:
	global_load_dword v2, v[0:1], off
	s_waitcnt vmcnt(0)
	v_cvt_f64_f32_e32 v[2:3], v2
.LBB8_510:
	s_mov_b64 s[0:1], 0
.LBB8_511:
	s_andn2_b64 vcc, exec, s[0:1]
	s_cbranch_vccnz .LBB8_513
; %bb.512:
	global_load_ushort v2, v[0:1], off
	s_waitcnt vmcnt(0)
	v_cvt_f32_f16_e32 v2, v2
	v_cvt_f64_f32_e32 v[2:3], v2
.LBB8_513:
	s_mov_b64 s[0:1], 0
.LBB8_514:
	s_andn2_b64 vcc, exec, s[0:1]
	s_cbranch_vccnz .LBB8_534
; %bb.515:
	s_cmp_lt_i32 s26, 2
	s_cbranch_scc1 .LBB8_519
; %bb.516:
	s_cmp_lt_i32 s26, 3
	s_cbranch_scc1 .LBB8_520
; %bb.517:
	s_cmp_gt_i32 s26, 3
	s_cbranch_scc0 .LBB8_521
; %bb.518:
	global_load_dwordx2 v[2:3], v[0:1], off
	s_mov_b64 s[0:1], 0
	s_waitcnt vmcnt(0)
	v_cvt_f64_i32_e32 v[4:5], v3
	v_cvt_f64_u32_e32 v[2:3], v2
	v_ldexp_f64 v[4:5], v[4:5], 32
	v_add_f64 v[2:3], v[4:5], v[2:3]
	s_branch .LBB8_522
.LBB8_519:
	s_mov_b64 s[0:1], -1
                                        ; implicit-def: $vgpr2_vgpr3
	s_branch .LBB8_528
.LBB8_520:
	s_mov_b64 s[0:1], -1
                                        ; implicit-def: $vgpr2_vgpr3
	s_branch .LBB8_525
.LBB8_521:
	s_mov_b64 s[0:1], -1
                                        ; implicit-def: $vgpr2_vgpr3
.LBB8_522:
	s_andn2_b64 vcc, exec, s[0:1]
	s_cbranch_vccnz .LBB8_524
; %bb.523:
	global_load_dword v2, v[0:1], off
	s_waitcnt vmcnt(0)
	v_cvt_f64_i32_e32 v[2:3], v2
.LBB8_524:
	s_mov_b64 s[0:1], 0
.LBB8_525:
	s_andn2_b64 vcc, exec, s[0:1]
	s_cbranch_vccnz .LBB8_527
; %bb.526:
	global_load_sshort v2, v[0:1], off
	s_waitcnt vmcnt(0)
	v_cvt_f64_i32_e32 v[2:3], v2
.LBB8_527:
	s_mov_b64 s[0:1], 0
.LBB8_528:
	s_andn2_b64 vcc, exec, s[0:1]
	s_cbranch_vccnz .LBB8_534
; %bb.529:
	s_cmp_gt_i32 s26, 0
	s_cbranch_scc0 .LBB8_531
; %bb.530:
	global_load_sbyte v2, v[0:1], off
	s_mov_b64 s[0:1], 0
	s_waitcnt vmcnt(0)
	v_cvt_f64_i32_e32 v[2:3], v2
	s_branch .LBB8_532
.LBB8_531:
	s_mov_b64 s[0:1], -1
                                        ; implicit-def: $vgpr2_vgpr3
.LBB8_532:
	s_andn2_b64 vcc, exec, s[0:1]
	s_cbranch_vccnz .LBB8_534
; %bb.533:
	global_load_ubyte v0, v[0:1], off
	s_waitcnt vmcnt(0)
	v_cvt_f64_u32_e32 v[2:3], v0
.LBB8_534:
	s_branch .LBB8_278
.LBB8_535:
	s_mov_b64 s[24:25], 0
                                        ; implicit-def: $vgpr14
	s_mov_b64 s[0:1], s[12:13]
.LBB8_536:
	s_andn2_b64 s[20:21], s[12:13], exec
	s_and_b64 s[0:1], s[0:1], exec
	s_or_b64 s[20:21], s[20:21], s[0:1]
	s_andn2_b64 s[0:1], s[14:15], exec
	s_and_b64 s[18:19], s[18:19], exec
	s_or_b64 s[18:19], s[0:1], s[18:19]
	s_orn2_b64 s[0:1], s[24:25], exec
.LBB8_537:
	s_or_b64 exec, exec, s[22:23]
	s_mov_b64 s[24:25], 0
	s_mov_b64 s[26:27], 0
	;; [unrolled: 1-line block ×3, first 2 shown]
                                        ; implicit-def: $vgpr0_vgpr1
                                        ; implicit-def: $vgpr2_vgpr3
	s_and_saveexec_b64 s[22:23], s[0:1]
	s_cbranch_execz .LBB8_894
; %bb.538:
	v_cmp_gt_i32_e32 vcc, s38, v14
	s_mov_b64 s[34:35], -1
	s_mov_b64 s[0:1], s[18:19]
	s_mov_b64 s[28:29], s[20:21]
	s_and_saveexec_b64 s[24:25], vcc
	s_cbranch_execz .LBB8_808
; %bb.539:
	v_mul_lo_u32 v0, v14, s9
	v_ashrrev_i32_e32 v1, 31, v0
	s_and_b32 s34, 0xffff, s42
	s_cmp_lt_i32 s34, 11
	v_lshl_add_u64 v[0:1], s[6:7], 0, v[0:1]
	s_cbranch_scc1 .LBB8_546
; %bb.540:
	s_cmp_gt_i32 s34, 25
	s_cbranch_scc0 .LBB8_547
; %bb.541:
	s_cmp_gt_i32 s34, 28
	s_cbranch_scc0 .LBB8_548
	;; [unrolled: 3-line block ×4, first 2 shown]
; %bb.544:
	s_cmp_eq_u32 s34, 46
	s_mov_b64 s[28:29], 0
	s_cbranch_scc0 .LBB8_555
; %bb.545:
	global_load_dword v2, v[0:1], off
	s_mov_b64 s[0:1], -1
	s_waitcnt vmcnt(0)
	v_lshlrev_b32_e32 v2, 16, v2
	v_cvt_f64_f32_e32 v[2:3], v2
	s_branch .LBB8_556
.LBB8_546:
	s_mov_b64 s[28:29], -1
	s_mov_b64 s[0:1], 0
                                        ; implicit-def: $vgpr2_vgpr3
	s_mov_b64 s[26:27], s[18:19]
	s_branch .LBB8_621
.LBB8_547:
	s_mov_b64 s[28:29], -1
	s_mov_b64 s[0:1], 0
	s_mov_b64 s[26:27], s[18:19]
                                        ; implicit-def: $vgpr2_vgpr3
	s_branch .LBB8_587
.LBB8_548:
	s_mov_b64 s[28:29], -1
	s_mov_b64 s[0:1], 0
	s_mov_b64 s[26:27], s[18:19]
                                        ; implicit-def: $vgpr2_vgpr3
	s_branch .LBB8_566
.LBB8_549:
	s_mov_b64 s[28:29], -1
	s_mov_b64 s[0:1], 0
	s_mov_b64 s[26:27], s[18:19]
                                        ; implicit-def: $vgpr2_vgpr3
	s_branch .LBB8_561
.LBB8_550:
	s_andn2_saveexec_b64 s[26:27], s[26:27]
	s_cbranch_execz .LBB8_335
.LBB8_551:
	s_mov_b32 s30, 0x46000000
	v_add_f32_e64 v3, |v2|, s30
	v_and_b32_e32 v3, 0xff, v3
	v_cmp_ne_u32_e32 vcc, 0, v3
	s_andn2_b64 s[24:25], s[24:25], exec
	s_and_b64 s[30:31], vcc, exec
	s_or_b64 s[24:25], s[24:25], s[30:31]
	s_or_b64 exec, exec, s[26:27]
	v_mov_b32_e32 v6, 0
	s_and_saveexec_b64 s[26:27], s[24:25]
	s_cbranch_execnz .LBB8_336
	s_branch .LBB8_337
.LBB8_552:
	s_mov_b64 s[28:29], -1
	s_mov_b64 s[0:1], 0
	s_mov_b64 s[26:27], s[18:19]
                                        ; implicit-def: $vgpr2_vgpr3
	s_branch .LBB8_556
.LBB8_553:
	s_andn2_saveexec_b64 s[26:27], s[26:27]
	s_cbranch_execz .LBB8_348
.LBB8_554:
	s_mov_b32 s30, 0x42800000
	v_add_f32_e64 v3, |v2|, s30
	v_and_b32_e32 v3, 0xff, v3
	v_cmp_ne_u32_e32 vcc, 0, v3
	s_andn2_b64 s[24:25], s[24:25], exec
	s_and_b64 s[30:31], vcc, exec
	s_or_b64 s[24:25], s[24:25], s[30:31]
	s_or_b64 exec, exec, s[26:27]
	v_mov_b32_e32 v6, 0
	s_and_saveexec_b64 s[26:27], s[24:25]
	s_cbranch_execnz .LBB8_349
	s_branch .LBB8_350
.LBB8_555:
	s_mov_b64 s[26:27], -1
                                        ; implicit-def: $vgpr2_vgpr3
	s_mov_b64 s[0:1], 0
.LBB8_556:
	s_and_b64 vcc, exec, s[28:29]
	s_cbranch_vccz .LBB8_560
; %bb.557:
	s_cmp_eq_u32 s34, 44
	s_cbranch_scc0 .LBB8_559
; %bb.558:
	global_load_ubyte v4, v[0:1], off
	s_movk_i32 s26, 0xff
	v_bfrev_b32_e32 v5, 4
	v_mov_b32_e32 v6, 0x7ff80000
	v_bfrev_b32_e32 v7, 28
	s_mov_b64 s[0:1], -1
	s_waitcnt vmcnt(0)
	v_lshlrev_b32_e32 v2, 23, v4
	v_cvt_f64_f32_e32 v[2:3], v2
	v_cmp_ne_u32_e32 vcc, s26, v4
	s_mov_b64 s[26:27], 0
	s_nop 0
	v_cndmask_b32_e32 v2, v5, v2, vcc
	v_cndmask_b32_e32 v3, v6, v3, vcc
	v_cmp_ne_u32_e32 vcc, 0, v4
	s_nop 1
	v_cndmask_b32_e32 v3, v7, v3, vcc
	v_cndmask_b32_e32 v2, 0, v2, vcc
	s_branch .LBB8_560
.LBB8_559:
	s_mov_b64 s[26:27], -1
                                        ; implicit-def: $vgpr2_vgpr3
.LBB8_560:
	s_mov_b64 s[28:29], 0
.LBB8_561:
	s_and_b64 vcc, exec, s[28:29]
	s_cbranch_vccz .LBB8_565
; %bb.562:
	s_cmp_eq_u32 s34, 29
	s_cbranch_scc0 .LBB8_564
; %bb.563:
	global_load_dwordx2 v[2:3], v[0:1], off
	s_mov_b64 s[0:1], -1
	s_mov_b64 s[26:27], 0
	s_mov_b64 s[28:29], 0
	s_waitcnt vmcnt(0)
	v_cvt_f64_u32_e32 v[4:5], v3
	v_cvt_f64_u32_e32 v[2:3], v2
	v_ldexp_f64 v[4:5], v[4:5], 32
	v_add_f64 v[2:3], v[4:5], v[2:3]
	s_branch .LBB8_566
.LBB8_564:
	s_mov_b64 s[26:27], -1
                                        ; implicit-def: $vgpr2_vgpr3
.LBB8_565:
	s_mov_b64 s[28:29], 0
.LBB8_566:
	s_and_b64 vcc, exec, s[28:29]
	s_cbranch_vccz .LBB8_586
; %bb.567:
	s_cmp_lt_i32 s34, 27
	s_cbranch_scc1 .LBB8_570
; %bb.568:
	s_cmp_gt_i32 s34, 27
	s_cbranch_scc0 .LBB8_571
; %bb.569:
	global_load_dword v2, v[0:1], off
	s_mov_b64 s[0:1], 0
	s_waitcnt vmcnt(0)
	v_cvt_f64_u32_e32 v[2:3], v2
	s_branch .LBB8_572
.LBB8_570:
	s_mov_b64 s[0:1], -1
                                        ; implicit-def: $vgpr2_vgpr3
	s_branch .LBB8_575
.LBB8_571:
	s_mov_b64 s[0:1], -1
                                        ; implicit-def: $vgpr2_vgpr3
.LBB8_572:
	s_andn2_b64 vcc, exec, s[0:1]
	s_cbranch_vccnz .LBB8_574
; %bb.573:
	global_load_ushort v2, v[0:1], off
	s_waitcnt vmcnt(0)
	v_cvt_f64_u32_e32 v[2:3], v2
.LBB8_574:
	s_mov_b64 s[0:1], 0
.LBB8_575:
	s_andn2_b64 vcc, exec, s[0:1]
	s_cbranch_vccnz .LBB8_585
; %bb.576:
	global_load_ubyte v4, v[0:1], off
	s_movk_i32 s0, 0x7f
	s_waitcnt vmcnt(0)
	v_cmp_lt_i16_e32 vcc, s0, v4
	s_mov_b64 s[0:1], 0
	s_and_saveexec_b64 s[28:29], vcc
	s_xor_b64 s[28:29], exec, s[28:29]
	s_cbranch_execz .LBB8_580
; %bb.577:
	s_movk_i32 s0, 0x80
	v_cmp_eq_u16_e32 vcc, s0, v4
	s_mov_b64 s[0:1], -1
	s_and_saveexec_b64 s[30:31], vcc
; %bb.578:
	s_xor_b64 s[0:1], exec, -1
; %bb.579:
	s_or_b64 exec, exec, s[30:31]
	s_and_b64 s[0:1], s[0:1], exec
.LBB8_580:
	s_or_saveexec_b64 s[28:29], s[28:29]
	v_bfrev_b32_e32 v2, 4
	v_mov_b32_e32 v3, 0x7ff80000
	s_xor_b64 exec, exec, s[28:29]
; %bb.581:
	v_cmp_ne_u16_e32 vcc, 0, v4
	s_andn2_b64 s[0:1], s[0:1], exec
	s_and_b64 s[30:31], vcc, exec
	v_mov_b64_e32 v[2:3], 0
	s_or_b64 s[0:1], s[0:1], s[30:31]
; %bb.582:
	s_or_b64 exec, exec, s[28:29]
	s_and_saveexec_b64 s[28:29], s[0:1]
	s_cbranch_execz .LBB8_584
; %bb.583:
	v_and_b32_e32 v3, 0xffff, v4
	v_lshlrev_b32_e32 v2, 24, v4
	v_and_b32_e32 v4, 7, v3
	v_ffbh_u32_e32 v6, v4
	v_min_u32_e32 v6, 32, v6
	v_subrev_u32_e32 v7, 28, v6
	v_bfe_u32 v5, v3, 3, 4
	v_lshlrev_b32_e32 v3, v7, v3
	v_sub_u32_e32 v6, 29, v6
	v_and_b32_e32 v3, 7, v3
	v_cmp_eq_u32_e32 vcc, 0, v5
	v_and_b32_e32 v2, 0x80000000, v2
	s_nop 0
	v_cndmask_b32_e32 v5, v5, v6, vcc
	v_cndmask_b32_e32 v3, v4, v3, vcc
	v_mov_b32_e32 v4, 0x3b800000
	v_lshlrev_b32_e32 v3, 20, v3
	v_lshl_add_u32 v4, v5, 23, v4
	v_or3_b32 v2, v2, v4, v3
	v_cvt_f64_f32_e32 v[2:3], v2
.LBB8_584:
	s_or_b64 exec, exec, s[28:29]
.LBB8_585:
	s_mov_b64 s[0:1], -1
.LBB8_586:
	s_mov_b64 s[28:29], 0
.LBB8_587:
	s_and_b64 vcc, exec, s[28:29]
	s_cbranch_vccz .LBB8_620
; %bb.588:
	s_cmp_gt_i32 s34, 22
	s_cbranch_scc0 .LBB8_600
; %bb.589:
	s_cmp_lt_i32 s34, 24
	s_cbranch_scc1 .LBB8_601
; %bb.590:
	s_cmp_gt_i32 s34, 24
	s_cbranch_scc0 .LBB8_602
; %bb.591:
	global_load_ubyte v4, v[0:1], off
	s_movk_i32 s0, 0x7f
	s_waitcnt vmcnt(0)
	v_cmp_lt_i16_e32 vcc, s0, v4
	s_mov_b64 s[0:1], 0
	s_and_saveexec_b64 s[28:29], vcc
	s_xor_b64 s[28:29], exec, s[28:29]
	s_cbranch_execz .LBB8_595
; %bb.592:
	s_movk_i32 s0, 0x80
	v_cmp_eq_u16_e32 vcc, s0, v4
	s_mov_b64 s[0:1], -1
	s_and_saveexec_b64 s[30:31], vcc
; %bb.593:
	s_xor_b64 s[0:1], exec, -1
; %bb.594:
	s_or_b64 exec, exec, s[30:31]
	s_and_b64 s[0:1], s[0:1], exec
.LBB8_595:
	s_or_saveexec_b64 s[28:29], s[28:29]
	v_bfrev_b32_e32 v2, 4
	v_mov_b32_e32 v3, 0x7ff80000
	s_xor_b64 exec, exec, s[28:29]
; %bb.596:
	v_cmp_ne_u16_e32 vcc, 0, v4
	s_andn2_b64 s[0:1], s[0:1], exec
	s_and_b64 s[30:31], vcc, exec
	v_mov_b64_e32 v[2:3], 0
	s_or_b64 s[0:1], s[0:1], s[30:31]
; %bb.597:
	s_or_b64 exec, exec, s[28:29]
	s_and_saveexec_b64 s[28:29], s[0:1]
	s_cbranch_execz .LBB8_599
; %bb.598:
	v_and_b32_e32 v3, 0xffff, v4
	v_lshlrev_b32_e32 v2, 24, v4
	v_and_b32_e32 v4, 3, v3
	v_ffbh_u32_e32 v6, v4
	v_min_u32_e32 v6, 32, v6
	v_subrev_u32_e32 v7, 29, v6
	v_bfe_u32 v5, v3, 2, 5
	v_lshlrev_b32_e32 v3, v7, v3
	v_sub_u32_e32 v6, 30, v6
	v_and_b32_e32 v3, 3, v3
	v_cmp_eq_u32_e32 vcc, 0, v5
	v_and_b32_e32 v2, 0x80000000, v2
	s_nop 0
	v_cndmask_b32_e32 v5, v5, v6, vcc
	v_cndmask_b32_e32 v3, v4, v3, vcc
	v_mov_b32_e32 v4, 0x37800000
	v_lshlrev_b32_e32 v3, 21, v3
	v_lshl_add_u32 v4, v5, 23, v4
	v_or3_b32 v2, v2, v4, v3
	v_cvt_f64_f32_e32 v[2:3], v2
.LBB8_599:
	s_or_b64 exec, exec, s[28:29]
	s_mov_b64 s[0:1], 0
	s_branch .LBB8_603
.LBB8_600:
	s_mov_b64 s[28:29], -1
                                        ; implicit-def: $vgpr2_vgpr3
	s_branch .LBB8_609
.LBB8_601:
	s_mov_b64 s[0:1], -1
                                        ; implicit-def: $vgpr2_vgpr3
	s_branch .LBB8_606
.LBB8_602:
	s_mov_b64 s[0:1], -1
                                        ; implicit-def: $vgpr2_vgpr3
.LBB8_603:
	s_and_b64 vcc, exec, s[0:1]
	s_cbranch_vccz .LBB8_605
; %bb.604:
	global_load_ubyte v2, v[0:1], off
	s_mov_b32 s0, 0x7f800000
	s_waitcnt vmcnt(0)
	v_lshlrev_b32_e32 v2, 24, v2
	v_and_b32_e32 v3, 0x7f000000, v2
	v_ffbh_u32_e32 v4, v3
	v_min_u32_e32 v4, 32, v4
	v_sub_u32_e64 v4, v4, 4 clamp
	v_lshlrev_b32_e32 v6, v4, v3
	v_lshlrev_b32_e32 v4, 23, v4
	v_lshrrev_b32_e32 v6, 4, v6
	v_add_u32_e32 v5, 0x1000000, v3
	v_sub_u32_e32 v4, v6, v4
	v_ashrrev_i32_e32 v5, 8, v5
	v_add_u32_e32 v4, 0x3c000000, v4
	v_and_or_b32 v4, v5, s0, v4
	v_cmp_ne_u32_e32 vcc, 0, v3
	s_brev_b32 s0, 1
	s_nop 0
	v_cndmask_b32_e32 v3, 0, v4, vcc
	v_and_or_b32 v2, v2, s0, v3
	v_cvt_f64_f32_e32 v[2:3], v2
.LBB8_605:
	s_mov_b64 s[0:1], 0
.LBB8_606:
	s_andn2_b64 vcc, exec, s[0:1]
	s_cbranch_vccnz .LBB8_608
; %bb.607:
	global_load_ubyte v2, v[0:1], off
	s_movk_i32 s0, 0x7f00
	s_brev_b32 s1, 16
	s_waitcnt vmcnt(0)
	v_lshlrev_b16_e32 v3, 8, v2
	v_lshlrev_b32_e32 v2, 25, v2
	v_lshrrev_b32_e32 v4, 4, v2
	v_and_or_b32 v5, v3, s0, 0.5
	v_or_b32_e32 v4, 0x70000000, v4
	v_add_f32_e32 v5, -0.5, v5
	v_mul_f32_e32 v4, 0x7800000, v4
	v_cmp_gt_u32_e32 vcc, s1, v2
	v_bfe_i32 v3, v3, 0, 16
	s_brev_b32 s0, 1
	v_cndmask_b32_e32 v2, v4, v5, vcc
	v_and_or_b32 v2, v3, s0, v2
	v_cvt_f64_f32_e32 v[2:3], v2
.LBB8_608:
	s_mov_b64 s[28:29], 0
	s_mov_b64 s[0:1], -1
.LBB8_609:
	s_andn2_b64 vcc, exec, s[28:29]
	s_cbranch_vccnz .LBB8_620
; %bb.610:
	s_cmp_gt_i32 s34, 14
	s_cbranch_scc0 .LBB8_613
; %bb.611:
	s_cmp_eq_u32 s34, 15
	s_cbranch_scc0 .LBB8_614
; %bb.612:
	global_load_ushort v2, v[0:1], off
	s_mov_b64 s[0:1], -1
	s_mov_b64 s[26:27], 0
	s_waitcnt vmcnt(0)
	v_lshlrev_b32_e32 v2, 16, v2
	v_cvt_f64_f32_e32 v[2:3], v2
	s_branch .LBB8_615
.LBB8_613:
	s_mov_b64 s[28:29], -1
                                        ; implicit-def: $vgpr2_vgpr3
	s_branch .LBB8_616
.LBB8_614:
	s_mov_b64 s[26:27], -1
                                        ; implicit-def: $vgpr2_vgpr3
.LBB8_615:
	s_mov_b64 s[28:29], 0
.LBB8_616:
	s_and_b64 vcc, exec, s[28:29]
	s_cbranch_vccz .LBB8_620
; %bb.617:
	s_cmp_eq_u32 s34, 11
	s_cbranch_scc0 .LBB8_619
; %bb.618:
	global_load_ubyte v3, v[0:1], off
	v_mov_b32_e32 v4, 0x3ff00000
	s_waitcnt vmcnt(1)
	v_mov_b32_e32 v2, 0
	s_mov_b64 s[0:1], -1
	s_mov_b64 s[26:27], 0
	s_waitcnt vmcnt(0)
	v_cmp_ne_u16_e32 vcc, 0, v3
	s_nop 1
	v_cndmask_b32_e32 v3, 0, v4, vcc
	s_branch .LBB8_620
.LBB8_619:
	s_mov_b64 s[26:27], -1
                                        ; implicit-def: $vgpr2_vgpr3
.LBB8_620:
	s_mov_b64 s[28:29], 0
.LBB8_621:
	s_and_b64 vcc, exec, s[28:29]
	s_cbranch_vccz .LBB8_670
; %bb.622:
	s_cmp_lt_i32 s34, 5
	s_cbranch_scc1 .LBB8_627
; %bb.623:
	s_cmp_lt_i32 s34, 8
	s_cbranch_scc1 .LBB8_628
; %bb.624:
	s_cmp_lt_i32 s34, 9
	s_cbranch_scc1 .LBB8_629
; %bb.625:
	s_cmp_gt_i32 s34, 9
	s_cbranch_scc0 .LBB8_630
; %bb.626:
	global_load_dwordx2 v[2:3], v[0:1], off
	s_mov_b64 s[0:1], 0
	s_branch .LBB8_631
.LBB8_627:
	s_mov_b64 s[0:1], -1
                                        ; implicit-def: $vgpr2_vgpr3
	s_branch .LBB8_649
.LBB8_628:
	s_mov_b64 s[0:1], -1
                                        ; implicit-def: $vgpr2_vgpr3
	s_branch .LBB8_637
.LBB8_629:
	s_mov_b64 s[0:1], -1
                                        ; implicit-def: $vgpr2_vgpr3
	s_branch .LBB8_634
.LBB8_630:
	s_mov_b64 s[0:1], -1
                                        ; implicit-def: $vgpr2_vgpr3
.LBB8_631:
	s_andn2_b64 vcc, exec, s[0:1]
	s_cbranch_vccnz .LBB8_633
; %bb.632:
	global_load_dword v2, v[0:1], off
	s_waitcnt vmcnt(0)
	v_cvt_f64_f32_e32 v[2:3], v2
.LBB8_633:
	s_mov_b64 s[0:1], 0
.LBB8_634:
	s_andn2_b64 vcc, exec, s[0:1]
	s_cbranch_vccnz .LBB8_636
; %bb.635:
	global_load_dword v2, v[0:1], off
	s_waitcnt vmcnt(0)
	v_cvt_f32_f16_e32 v2, v2
	v_cvt_f64_f32_e32 v[2:3], v2
.LBB8_636:
	s_mov_b64 s[0:1], 0
.LBB8_637:
	s_andn2_b64 vcc, exec, s[0:1]
	s_cbranch_vccnz .LBB8_648
; %bb.638:
	s_cmp_lt_i32 s34, 6
	s_cbranch_scc1 .LBB8_641
; %bb.639:
	s_cmp_gt_i32 s34, 6
	s_cbranch_scc0 .LBB8_642
; %bb.640:
	global_load_dwordx2 v[2:3], v[0:1], off
	s_mov_b64 s[0:1], 0
	s_branch .LBB8_643
.LBB8_641:
	s_mov_b64 s[0:1], -1
                                        ; implicit-def: $vgpr2_vgpr3
	s_branch .LBB8_646
.LBB8_642:
	s_mov_b64 s[0:1], -1
                                        ; implicit-def: $vgpr2_vgpr3
.LBB8_643:
	s_andn2_b64 vcc, exec, s[0:1]
	s_cbranch_vccnz .LBB8_645
; %bb.644:
	global_load_dword v2, v[0:1], off
	s_waitcnt vmcnt(0)
	v_cvt_f64_f32_e32 v[2:3], v2
.LBB8_645:
	s_mov_b64 s[0:1], 0
.LBB8_646:
	s_andn2_b64 vcc, exec, s[0:1]
	s_cbranch_vccnz .LBB8_648
; %bb.647:
	global_load_ushort v2, v[0:1], off
	s_waitcnt vmcnt(0)
	v_cvt_f32_f16_e32 v2, v2
	v_cvt_f64_f32_e32 v[2:3], v2
.LBB8_648:
	s_mov_b64 s[0:1], 0
.LBB8_649:
	s_andn2_b64 vcc, exec, s[0:1]
	s_cbranch_vccnz .LBB8_669
; %bb.650:
	s_cmp_lt_i32 s34, 2
	s_cbranch_scc1 .LBB8_654
; %bb.651:
	s_cmp_lt_i32 s34, 3
	s_cbranch_scc1 .LBB8_655
; %bb.652:
	s_cmp_gt_i32 s34, 3
	s_cbranch_scc0 .LBB8_656
; %bb.653:
	global_load_dwordx2 v[2:3], v[0:1], off
	s_mov_b64 s[0:1], 0
	s_waitcnt vmcnt(0)
	v_cvt_f64_i32_e32 v[4:5], v3
	v_cvt_f64_u32_e32 v[2:3], v2
	v_ldexp_f64 v[4:5], v[4:5], 32
	v_add_f64 v[2:3], v[4:5], v[2:3]
	s_branch .LBB8_657
.LBB8_654:
	s_mov_b64 s[0:1], -1
                                        ; implicit-def: $vgpr2_vgpr3
	s_branch .LBB8_663
.LBB8_655:
	s_mov_b64 s[0:1], -1
                                        ; implicit-def: $vgpr2_vgpr3
	s_branch .LBB8_660
.LBB8_656:
	s_mov_b64 s[0:1], -1
                                        ; implicit-def: $vgpr2_vgpr3
.LBB8_657:
	s_andn2_b64 vcc, exec, s[0:1]
	s_cbranch_vccnz .LBB8_659
; %bb.658:
	global_load_dword v2, v[0:1], off
	s_waitcnt vmcnt(0)
	v_cvt_f64_i32_e32 v[2:3], v2
.LBB8_659:
	s_mov_b64 s[0:1], 0
.LBB8_660:
	s_andn2_b64 vcc, exec, s[0:1]
	s_cbranch_vccnz .LBB8_662
; %bb.661:
	global_load_sshort v2, v[0:1], off
	s_waitcnt vmcnt(0)
	v_cvt_f64_i32_e32 v[2:3], v2
.LBB8_662:
	s_mov_b64 s[0:1], 0
.LBB8_663:
	s_andn2_b64 vcc, exec, s[0:1]
	s_cbranch_vccnz .LBB8_669
; %bb.664:
	s_cmp_gt_i32 s34, 0
	s_cbranch_scc0 .LBB8_666
; %bb.665:
	global_load_sbyte v2, v[0:1], off
	s_mov_b64 s[0:1], 0
	s_waitcnt vmcnt(0)
	v_cvt_f64_i32_e32 v[2:3], v2
	s_branch .LBB8_667
.LBB8_666:
	s_mov_b64 s[0:1], -1
                                        ; implicit-def: $vgpr2_vgpr3
.LBB8_667:
	s_andn2_b64 vcc, exec, s[0:1]
	s_cbranch_vccnz .LBB8_669
; %bb.668:
	global_load_ubyte v0, v[0:1], off
	s_waitcnt vmcnt(0)
	v_cvt_f64_u32_e32 v[2:3], v0
.LBB8_669:
	s_mov_b64 s[0:1], -1
.LBB8_670:
	s_andn2_b64 vcc, exec, s[0:1]
	s_cbranch_vccnz .LBB8_690
; %bb.671:
	s_mov_b32 s0, 0
	s_mov_b32 s1, 0x40200000
	s_waitcnt vmcnt(0)
	v_cmp_le_f64_e64 s[0:1], |v[2:3]|, s[0:1]
                                        ; implicit-def: $vgpr0_vgpr1
	s_and_saveexec_b64 s[28:29], s[0:1]
	s_xor_b64 s[0:1], exec, s[28:29]
	s_cbranch_execz .LBB8_677
; %bb.672:
	s_mov_b32 s28, 0xc3c4014
	v_fma_f64 v[0:1], |v[2:3]|, 0.5, -2.0
	v_mov_b32_e32 v4, 0xc38a0576
	v_mov_b32_e32 v5, 0xbc7857d0
	s_mov_b32 s29, 0x3c499f2a
	v_fmac_f64_e32 v[4:5], s[28:29], v[0:1]
	v_mov_b32_e32 v6, 0xc3c4014
	v_mov_b32_e32 v7, 0xbc499f2a
	s_mov_b32 s28, 0xe593bfac
	v_fmac_f64_e32 v[6:7], v[0:1], v[4:5]
	s_mov_b32 s29, 0x3ca663e3
	v_add_f64 v[6:7], v[6:7], s[28:29]
	s_mov_b32 s28, 0x7e0d1573
	v_fma_f64 v[4:5], v[0:1], v[6:7], -v[4:5]
	s_mov_b32 s29, 0xbcd3eaaa
	v_add_f64 v[4:5], v[4:5], s[28:29]
	s_mov_b32 s28, 0x615290c
	v_fma_f64 v[6:7], v[0:1], v[4:5], -v[6:7]
	;; [unrolled: 4-line block ×26, first 2 shown]
	s_mov_b32 s29, 0x3fd02a63
	v_add_f64 v[0:1], v[0:1], s[28:29]
	v_add_f64 v[0:1], v[0:1], -v[6:7]
	s_mov_b32 s28, 0x652b82fe
	v_mul_f64 v[0:1], v[0:1], 0.5
	s_mov_b32 s29, 0x3ff71547
	v_mul_f64 v[4:5], |v[2:3]|, v[0:1]
	v_mul_f64 v[0:1], |v[2:3]|, s[28:29]
	s_mov_b32 s28, 0xfefa39ef
	v_rndne_f64_e32 v[0:1], v[0:1]
	s_mov_b32 s29, 0xbfe62e42
	v_fma_f64 v[6:7], v[0:1], s[28:29], |v[2:3]|
	s_mov_b32 s28, 0x3b39803f
	s_mov_b32 s29, 0xbc7abc9e
	v_fmac_f64_e32 v[6:7], s[28:29], v[0:1]
	s_mov_b32 s28, 0x6a5dcb37
	v_mov_b32_e32 v8, 0xfca7ab0c
	v_mov_b32_e32 v9, 0x3e928af3
	s_mov_b32 s29, 0x3e5ade15
	v_fmac_f64_e32 v[8:9], s[28:29], v[6:7]
	v_mov_b32_e32 v10, 0x623fde64
	v_mov_b32_e32 v11, 0x3ec71dee
	v_fmac_f64_e32 v[10:11], v[6:7], v[8:9]
	v_mov_b32_e32 v8, 0x7c89e6b0
	v_mov_b32_e32 v9, 0x3efa0199
	;; [unrolled: 3-line block ×8, first 2 shown]
	v_fmac_f64_e32 v[8:9], v[6:7], v[10:11]
	v_fma_f64 v[8:9], v[6:7], v[8:9], 1.0
	v_cmp_ngt_f64_e32 vcc, 0, v[2:3]
	v_fma_f64 v[6:7], v[6:7], v[8:9], 1.0
	v_cvt_i32_f64_e32 v8, v[0:1]
                                        ; implicit-def: $vgpr0_vgpr1
	s_and_saveexec_b64 s[28:29], vcc
	s_xor_b64 s[28:29], exec, s[28:29]
; %bb.673:
	s_mov_b32 s30, 0
	s_mov_b32 s31, 0x40900000
	v_ldexp_f64 v[0:1], v[6:7], v8
	v_mov_b32_e32 v6, 0x7ff00000
	v_cmp_ngt_f64_e64 vcc, |v[2:3]|, s[30:31]
                                        ; implicit-def: $vgpr8
                                        ; implicit-def: $vgpr2_vgpr3
	s_nop 1
	v_cndmask_b32_e32 v1, v6, v1, vcc
	v_cndmask_b32_e32 v0, 0, v0, vcc
	v_mul_f64 v[0:1], v[0:1], v[4:5]
                                        ; implicit-def: $vgpr6_vgpr7
                                        ; implicit-def: $vgpr4_vgpr5
; %bb.674:
	s_andn2_saveexec_b64 s[28:29], s[28:29]
; %bb.675:
	s_mov_b32 s30, 0
	s_mov_b32 s31, 0x40900000
	v_ldexp_f64 v[0:1], -v[6:7], v8
	v_mov_b32_e32 v6, 0xfff00000
	v_cmp_ngt_f64_e64 vcc, |v[2:3]|, s[30:31]
	s_nop 1
	v_cndmask_b32_e32 v1, v6, v1, vcc
	v_cndmask_b32_e32 v0, 0, v0, vcc
	v_mul_f64 v[0:1], v[0:1], v[4:5]
; %bb.676:
	s_or_b64 exec, exec, s[28:29]
                                        ; implicit-def: $vgpr2_vgpr3
.LBB8_677:
	s_andn2_saveexec_b64 s[28:29], s[0:1]
	s_cbranch_execz .LBB8_683
; %bb.678:
	s_mov_b32 s0, 0
	v_and_b32_e32 v1, 0x7fffffff, v3
	v_mov_b32_e32 v0, v2
	s_mov_b32 s1, 0x40400000
	v_div_scale_f64 v[4:5], s[30:31], v[0:1], v[0:1], s[0:1]
	v_rcp_f64_e32 v[6:7], v[4:5]
	v_div_scale_f64 v[0:1], vcc, s[0:1], v[0:1], s[0:1]
	v_mov_b32_e32 v10, 0xfca7ab0c
	v_fma_f64 v[8:9], -v[4:5], v[6:7], 1.0
	v_fmac_f64_e32 v[6:7], v[6:7], v[8:9]
	v_fma_f64 v[8:9], -v[4:5], v[6:7], 1.0
	v_fmac_f64_e32 v[6:7], v[6:7], v[8:9]
	v_mul_f64 v[8:9], v[0:1], v[6:7]
	v_fma_f64 v[0:1], -v[4:5], v[8:9], v[0:1]
	v_div_fmas_f64 v[0:1], v[0:1], v[6:7], v[8:9]
	v_div_fixup_f64 v[0:1], v[0:1], |v[2:3]|, s[0:1]
	s_mov_b32 s0, 0xb352e8e6
	v_add_f64 v[0:1], v[0:1], -2.0
	v_mov_b32_e32 v4, 0xea87b950
	v_mov_b32_e32 v5, 0x3c545b8a
	s_mov_b32 s1, 0x3c61556d
	v_fmac_f64_e32 v[4:5], s[0:1], v[0:1]
	v_mov_b32_e32 v6, 0xb352e8e6
	v_mov_b32_e32 v7, 0xbc61556d
	s_mov_b32 s0, 0xb2532277
	v_fmac_f64_e32 v[6:7], v[0:1], v[4:5]
	s_mov_b32 s1, 0xbc8acea3
	v_add_f64 v[6:7], v[6:7], s[0:1]
	s_mov_b32 s0, 0x9c773320
	v_fma_f64 v[4:5], v[0:1], v[6:7], -v[4:5]
	s_mov_b32 s1, 0xbc82806c
	v_add_f64 v[4:5], v[4:5], s[0:1]
	s_mov_b32 s0, 0xfceb588a
	v_fma_f64 v[6:7], v[0:1], v[4:5], -v[6:7]
	s_mov_b32 s1, 0x3cb55915
	v_add_f64 v[6:7], v[6:7], s[0:1]
	s_mov_b32 s0, 0x5f04a2d1
	v_fma_f64 v[4:5], v[0:1], v[6:7], -v[4:5]
	s_mov_b32 s1, 0x3cb7d68e
	v_add_f64 v[4:5], v[4:5], s[0:1]
	s_mov_b32 s0, 0x8bc4d22a
	v_fma_f64 v[6:7], v[0:1], v[4:5], -v[6:7]
	s_mov_b32 s1, 0xbce0efcd
	v_add_f64 v[6:7], v[6:7], s[0:1]
	s_mov_b32 s0, 0x138afbc7
	v_fma_f64 v[4:5], v[0:1], v[6:7], -v[4:5]
	s_mov_b32 s1, 0xbcf12db5
	v_add_f64 v[4:5], v[4:5], s[0:1]
	s_mov_b32 s0, 0x762d31e8
	v_fma_f64 v[6:7], v[0:1], v[4:5], -v[6:7]
	s_mov_b32 s1, 0x3d0776e1
	v_add_f64 v[6:7], v[6:7], s[0:1]
	s_mov_b32 s0, 0x26b3281e
	v_fma_f64 v[4:5], v[0:1], v[6:7], -v[4:5]
	s_mov_b32 s1, 0x3d280d3c
	v_add_f64 v[4:5], v[4:5], s[0:1]
	s_mov_b32 s0, 0x2e6d22a0
	v_fma_f64 v[6:7], v[0:1], v[4:5], -v[6:7]
	s_mov_b32 s1, 0xbd17a948
	v_add_f64 v[6:7], v[6:7], s[0:1]
	s_mov_b32 s0, 0x8e73e255
	v_fma_f64 v[4:5], v[0:1], v[6:7], -v[4:5]
	s_mov_b32 s1, 0xbd5cbc45
	v_add_f64 v[4:5], v[4:5], s[0:1]
	s_mov_b32 s0, 0x76ab493
	v_fma_f64 v[6:7], v[0:1], v[4:5], -v[6:7]
	s_mov_b32 s1, 0xbd6953e1
	v_add_f64 v[6:7], v[6:7], s[0:1]
	s_mov_b32 s0, 0xf6439fa3
	v_fma_f64 v[4:5], v[0:1], v[6:7], -v[4:5]
	s_mov_b32 s1, 0x3d81e7d3
	v_add_f64 v[4:5], v[4:5], s[0:1]
	s_mov_b32 s0, 0x653c457b
	v_fma_f64 v[6:7], v[0:1], v[4:5], -v[6:7]
	s_mov_b32 s1, 0x3daf101f
	v_add_f64 v[6:7], v[6:7], s[0:1]
	s_mov_b32 s0, 0xf1587865
	v_fma_f64 v[4:5], v[0:1], v[6:7], -v[4:5]
	s_mov_b32 s1, 0x3dc1e1a1
	v_add_f64 v[4:5], v[4:5], s[0:1]
	s_mov_b32 s0, 0xd4504c0c
	v_fma_f64 v[6:7], v[0:1], v[4:5], -v[6:7]
	s_mov_b32 s1, 0xbdb4dcf9
	v_add_f64 v[6:7], v[6:7], s[0:1]
	s_mov_b32 s0, 0x5423dd80
	v_fma_f64 v[4:5], v[0:1], v[6:7], -v[4:5]
	s_mov_b32 s1, 0xbe0334ca
	v_add_f64 v[4:5], v[4:5], s[0:1]
	s_mov_b32 s0, 0x9ad53528
	v_fma_f64 v[6:7], v[0:1], v[4:5], -v[6:7]
	s_mov_b32 s1, 0xbe30790b
	v_add_f64 v[6:7], v[6:7], s[0:1]
	s_mov_b32 s0, 0x94bb46c1
	v_fma_f64 v[4:5], v[0:1], v[6:7], -v[4:5]
	s_mov_b32 s1, 0xbe5c4153
	v_add_f64 v[4:5], v[4:5], s[0:1]
	s_mov_b32 s0, 0x2e9e5443
	v_fma_f64 v[6:7], v[0:1], v[4:5], -v[6:7]
	s_mov_b32 s1, 0xbe90dbfd
	v_add_f64 v[6:7], v[6:7], s[0:1]
	s_mov_b32 s0, 0x49ca0373
	v_fma_f64 v[4:5], v[0:1], v[6:7], -v[4:5]
	s_mov_b32 s1, 0xbed048df
	v_add_f64 v[4:5], v[4:5], s[0:1]
	s_mov_b32 s0, 0x804aa9a6
	v_fma_f64 v[6:7], v[0:1], v[4:5], -v[6:7]
	s_mov_b32 s1, 0xbf1cfd7f
	v_add_f64 v[6:7], v[6:7], s[0:1]
	s_mov_b32 s0, 0x53fcdb4c
	v_fma_f64 v[4:5], v[0:1], v[6:7], -v[4:5]
	s_mov_b32 s1, 0xbf83fda0
	v_add_f64 v[4:5], v[4:5], s[0:1]
	s_mov_b32 s0, 0xb55b1514
	v_fma_f64 v[0:1], v[0:1], v[4:5], -v[6:7]
	s_mov_b32 s1, 0x3fe8ea18
	v_add_f64 v[0:1], v[0:1], s[0:1]
	s_mov_b32 s0, 0x652b82fe
	s_mov_b32 s1, 0x3ff71547
	v_mul_f64 v[4:5], |v[2:3]|, s[0:1]
	s_mov_b32 s0, 0xfefa39ef
	v_rndne_f64_e32 v[4:5], v[4:5]
	s_mov_b32 s1, 0xbfe62e42
	v_fma_f64 v[8:9], v[4:5], s[0:1], |v[2:3]|
	s_mov_b32 s0, 0x3b39803f
	s_mov_b32 s1, 0xbc7abc9e
	v_fmac_f64_e32 v[8:9], s[0:1], v[4:5]
	s_mov_b32 s0, 0x6a5dcb37
	v_mov_b32_e32 v11, 0x3e928af3
	s_mov_b32 s1, 0x3e5ade15
	v_fmac_f64_e32 v[10:11], s[0:1], v[8:9]
	v_mov_b32_e32 v12, 0x623fde64
	v_mov_b32_e32 v13, 0x3ec71dee
	v_fmac_f64_e32 v[12:13], v[8:9], v[10:11]
	v_mov_b32_e32 v10, 0x7c89e6b0
	v_mov_b32_e32 v11, 0x3efa0199
	;; [unrolled: 3-line block ×8, first 2 shown]
	v_fmac_f64_e32 v[10:11], v[8:9], v[12:13]
	v_fma_f64 v[10:11], v[8:9], v[10:11], 1.0
	s_mov_b32 s0, 0
	v_fma_f64 v[8:9], v[8:9], v[10:11], 1.0
	v_cvt_i32_f64_e32 v4, v[4:5]
	s_mov_b32 s1, 0x40900000
	v_ldexp_f64 v[4:5], v[8:9], v4
	v_mov_b32_e32 v8, 0x7ff00000
	v_cmp_ngt_f64_e64 s[0:1], |v[2:3]|, s[0:1]
	v_cmp_ngt_f64_e32 vcc, 0, v[2:3]
	v_add_f64 v[6:7], v[0:1], -v[6:7]
	v_cndmask_b32_e64 v5, v8, v5, s[0:1]
	v_cndmask_b32_e64 v4, 0, v4, s[0:1]
                                        ; implicit-def: $vgpr0_vgpr1
	s_and_saveexec_b64 s[0:1], vcc
	s_xor_b64 s[0:1], exec, s[0:1]
	s_cbranch_execz .LBB8_680
; %bb.679:
	s_mov_b32 s30, 0
	s_brev_b32 s31, 8
	v_mov_b32_e32 v0, 0x100
	v_cmp_lt_f64_e64 vcc, |v[2:3]|, s[30:31]
	v_mul_f64 v[6:7], v[6:7], 0.5
	v_mul_f64 v[4:5], v[4:5], v[6:7]
	v_cndmask_b32_e32 v0, 0, v0, vcc
	v_ldexp_f64 v[0:1], |v[2:3]|, v0
	v_rsq_f64_e32 v[2:3], v[0:1]
	s_nop 0
	v_mul_f64 v[6:7], v[0:1], v[2:3]
	v_mul_f64 v[2:3], v[2:3], 0.5
	v_fma_f64 v[8:9], -v[2:3], v[6:7], 0.5
	v_fmac_f64_e32 v[6:7], v[6:7], v[8:9]
	v_fma_f64 v[10:11], -v[6:7], v[6:7], v[0:1]
	v_fmac_f64_e32 v[2:3], v[2:3], v[8:9]
	v_fmac_f64_e32 v[6:7], v[10:11], v[2:3]
	v_fma_f64 v[8:9], -v[6:7], v[6:7], v[0:1]
	v_fmac_f64_e32 v[6:7], v[8:9], v[2:3]
	v_mov_b32_e32 v2, 0xffffff80
	v_cndmask_b32_e32 v2, 0, v2, vcc
	v_ldexp_f64 v[2:3], v[6:7], v2
	v_mov_b32_e32 v6, 0x260
	v_cmp_class_f64_e32 vcc, v[0:1], v6
	s_nop 1
	v_cndmask_b32_e32 v1, v3, v1, vcc
	v_cndmask_b32_e32 v0, v2, v0, vcc
	v_div_scale_f64 v[2:3], s[30:31], v[0:1], v[0:1], v[4:5]
	v_rcp_f64_e32 v[6:7], v[2:3]
	s_nop 0
	v_fma_f64 v[8:9], -v[2:3], v[6:7], 1.0
	v_fmac_f64_e32 v[6:7], v[6:7], v[8:9]
	v_fma_f64 v[8:9], -v[2:3], v[6:7], 1.0
	v_fmac_f64_e32 v[6:7], v[6:7], v[8:9]
	v_div_scale_f64 v[8:9], vcc, v[4:5], v[0:1], v[4:5]
	v_mul_f64 v[10:11], v[8:9], v[6:7]
	v_fma_f64 v[2:3], -v[2:3], v[10:11], v[8:9]
	s_nop 1
	v_div_fmas_f64 v[2:3], v[2:3], v[6:7], v[10:11]
	v_div_fixup_f64 v[0:1], v[2:3], v[0:1], v[4:5]
                                        ; implicit-def: $vgpr2_vgpr3
                                        ; implicit-def: $vgpr6_vgpr7
                                        ; implicit-def: $vgpr4_vgpr5
.LBB8_680:
	s_andn2_saveexec_b64 s[0:1], s[0:1]
	s_cbranch_execz .LBB8_682
; %bb.681:
	s_mov_b32 s30, 0
	s_brev_b32 s31, 8
	v_mov_b32_e32 v0, 0x100
	v_cmp_lt_f64_e64 vcc, |v[2:3]|, s[30:31]
	s_nop 1
	v_cndmask_b32_e32 v0, 0, v0, vcc
	v_ldexp_f64 v[0:1], |v[2:3]|, v0
	v_rsq_f64_e32 v[2:3], v[0:1]
	s_nop 0
	v_mul_f64 v[8:9], v[0:1], v[2:3]
	v_mul_f64 v[2:3], v[2:3], 0.5
	v_fma_f64 v[10:11], -v[2:3], v[8:9], 0.5
	v_fmac_f64_e32 v[8:9], v[8:9], v[10:11]
	v_fma_f64 v[12:13], -v[8:9], v[8:9], v[0:1]
	v_fmac_f64_e32 v[2:3], v[2:3], v[10:11]
	v_fmac_f64_e32 v[8:9], v[12:13], v[2:3]
	v_fma_f64 v[10:11], -v[8:9], v[8:9], v[0:1]
	v_fmac_f64_e32 v[8:9], v[10:11], v[2:3]
	v_mov_b32_e32 v2, 0xffffff80
	v_cndmask_b32_e32 v2, 0, v2, vcc
	v_ldexp_f64 v[2:3], v[8:9], v2
	v_mov_b32_e32 v8, 0x260
	v_cmp_class_f64_e32 vcc, v[0:1], v8
	s_nop 1
	v_cndmask_b32_e32 v1, v3, v1, vcc
	v_cndmask_b32_e32 v0, v2, v0, vcc
	v_mul_f64 v[2:3], v[6:7], -0.5
	v_mul_f64 v[2:3], v[4:5], v[2:3]
	v_div_scale_f64 v[4:5], s[30:31], v[0:1], v[0:1], v[2:3]
	v_rcp_f64_e32 v[6:7], v[4:5]
	s_nop 0
	v_fma_f64 v[8:9], -v[4:5], v[6:7], 1.0
	v_fmac_f64_e32 v[6:7], v[6:7], v[8:9]
	v_fma_f64 v[8:9], -v[4:5], v[6:7], 1.0
	v_fmac_f64_e32 v[6:7], v[6:7], v[8:9]
	v_div_scale_f64 v[8:9], vcc, v[2:3], v[0:1], v[2:3]
	v_mul_f64 v[10:11], v[8:9], v[6:7]
	v_fma_f64 v[4:5], -v[4:5], v[10:11], v[8:9]
	s_nop 1
	v_div_fmas_f64 v[4:5], v[4:5], v[6:7], v[10:11]
	v_div_fixup_f64 v[0:1], v[4:5], v[0:1], v[2:3]
.LBB8_682:
	s_or_b64 exec, exec, s[0:1]
.LBB8_683:
	s_or_b64 exec, exec, s[28:29]
	v_mul_lo_u32 v2, v14, s8
	v_ashrrev_i32_e32 v3, 31, v2
	s_and_b32 s36, s33, 0xff
	s_cmp_lt_i32 s36, 11
	v_lshl_add_u64 v[4:5], s[4:5], 0, v[2:3]
	s_cbranch_scc1 .LBB8_691
; %bb.684:
	s_and_b32 s37, 0xffff, s36
	s_cmp_gt_i32 s37, 25
	s_cbranch_scc0 .LBB8_692
; %bb.685:
	s_cmp_gt_i32 s37, 28
	s_cbranch_scc0 .LBB8_693
; %bb.686:
	;; [unrolled: 3-line block ×4, first 2 shown]
	s_mov_b64 s[30:31], 0
	s_mov_b64 s[0:1], -1
	s_cmp_eq_u32 s37, 46
	s_mov_b64 s[28:29], 0
	s_cbranch_scc0 .LBB8_696
; %bb.689:
	v_cvt_f32_f64_e32 v2, v[0:1]
	v_bfe_u32 v3, v2, 16, 1
	s_movk_i32 s0, 0x7fff
	v_add3_u32 v3, v2, v3, s0
	v_cmp_o_f32_e32 vcc, v2, v2
	v_mov_b32_e32 v2, 0x7fc0
	s_mov_b64 s[28:29], -1
	v_cndmask_b32_sdwa v2, v2, v3, vcc dst_sel:DWORD dst_unused:UNUSED_PAD src0_sel:DWORD src1_sel:WORD_1
	global_store_dword v[4:5], v2, off
	s_mov_b64 s[0:1], 0
	s_branch .LBB8_696
.LBB8_690:
	s_mov_b64 s[30:31], 0
                                        ; implicit-def: $vgpr14
	s_mov_b64 s[0:1], s[20:21]
	s_branch .LBB8_807
.LBB8_691:
	s_mov_b64 s[30:31], -1
	s_mov_b64 s[28:29], 0
	s_mov_b64 s[0:1], s[20:21]
	s_branch .LBB8_765
.LBB8_692:
	s_mov_b64 s[30:31], -1
	s_mov_b64 s[28:29], 0
	s_mov_b64 s[0:1], s[20:21]
	s_branch .LBB8_723
.LBB8_693:
	s_mov_b64 s[30:31], -1
	s_mov_b64 s[28:29], 0
	s_mov_b64 s[0:1], s[20:21]
	s_branch .LBB8_706
.LBB8_694:
	s_mov_b64 s[30:31], -1
	s_mov_b64 s[28:29], 0
	s_mov_b64 s[0:1], s[20:21]
	s_branch .LBB8_702
.LBB8_695:
	s_mov_b64 s[30:31], -1
	s_mov_b64 s[28:29], 0
	s_mov_b64 s[0:1], s[20:21]
.LBB8_696:
	s_and_b64 vcc, exec, s[30:31]
	s_cbranch_vccz .LBB8_701
; %bb.697:
	s_cmp_eq_u32 s37, 44
	s_mov_b64 s[0:1], -1
	s_cbranch_scc0 .LBB8_701
; %bb.698:
	v_cvt_f32_f64_e32 v2, v[0:1]
	v_bfe_u32 v3, v2, 23, 8
	s_movk_i32 s0, 0xff
	v_cmp_ne_u32_e32 vcc, s0, v3
	v_mov_b32_e32 v6, 0xff
	s_and_saveexec_b64 s[28:29], vcc
; %bb.699:
	s_mov_b32 s0, 0x3fffff
	v_lshrrev_b32_e32 v6, 23, v2
	v_and_b32_e32 v7, 0x400000, v2
	v_and_or_b32 v2, v2, s0, v3
	v_cmp_ne_u32_e32 vcc, 0, v7
	v_cmp_ne_u32_e64 s[0:1], 0, v2
	s_and_b64 s[0:1], vcc, s[0:1]
	s_nop 0
	v_cndmask_b32_e64 v2, 0, 1, s[0:1]
	v_add_u32_e32 v6, v6, v2
; %bb.700:
	s_or_b64 exec, exec, s[28:29]
	s_mov_b64 s[28:29], -1
	s_mov_b64 s[0:1], 0
	global_store_byte v[4:5], v6, off
.LBB8_701:
	s_mov_b64 s[30:31], 0
.LBB8_702:
	s_and_b64 vcc, exec, s[30:31]
	s_cbranch_vccz .LBB8_705
; %bb.703:
	s_cmp_eq_u32 s37, 29
	s_mov_b64 s[0:1], -1
	s_cbranch_scc0 .LBB8_705
; %bb.704:
	v_trunc_f64_e32 v[2:3], v[0:1]
	s_movk_i32 s0, 0xffe0
	v_ldexp_f64 v[6:7], v[2:3], s0
	v_floor_f64_e32 v[6:7], v[6:7]
	v_fmac_f64_e32 v[2:3], 0xc1f00000, v[6:7]
	v_cvt_u32_f64_e32 v9, v[6:7]
	v_cvt_u32_f64_e32 v8, v[2:3]
	global_store_dwordx2 v[4:5], v[8:9], off
	s_mov_b64 s[28:29], -1
	s_mov_b64 s[0:1], 0
.LBB8_705:
	s_mov_b64 s[30:31], 0
.LBB8_706:
	s_and_b64 vcc, exec, s[30:31]
	s_cbranch_vccz .LBB8_722
; %bb.707:
	s_cmp_lt_i32 s37, 27
	s_mov_b64 s[28:29], -1
	s_cbranch_scc1 .LBB8_713
; %bb.708:
	s_cmp_gt_i32 s37, 27
	v_cvt_u32_f64_e32 v2, v[0:1]
	s_cbranch_scc0 .LBB8_710
; %bb.709:
	s_mov_b64 s[28:29], 0
	global_store_dword v[4:5], v2, off
.LBB8_710:
	s_andn2_b64 vcc, exec, s[28:29]
	s_cbranch_vccnz .LBB8_712
; %bb.711:
	global_store_short v[4:5], v2, off
.LBB8_712:
	s_mov_b64 s[28:29], 0
.LBB8_713:
	s_andn2_b64 vcc, exec, s[28:29]
	s_cbranch_vccnz .LBB8_721
; %bb.714:
	v_cvt_f32_f64_e32 v2, v[0:1]
	v_and_b32_e32 v3, 0x7fffffff, v2
	s_mov_b32 s28, 0x43800000
	v_cmp_gt_u32_e32 vcc, s28, v3
	v_mov_b32_e32 v6, 0x80
	s_and_saveexec_b64 s[28:29], vcc
	s_cbranch_execz .LBB8_720
; %bb.715:
	s_mov_b32 s30, 0x3bffffff
	v_cmp_lt_u32_e32 vcc, s30, v3
	s_mov_b64 s[30:31], 0
                                        ; implicit-def: $vgpr3
	s_and_saveexec_b64 s[34:35], vcc
	s_xor_b64 s[34:35], exec, s[34:35]
	s_cbranch_execz .LBB8_821
; %bb.716:
	v_bfe_u32 v3, v2, 20, 1
	s_mov_b32 s39, 0x487ffff
	v_add3_u32 v3, v2, v3, s39
	s_mov_b64 s[30:31], exec
	v_lshrrev_b32_e32 v3, 20, v3
	s_andn2_saveexec_b64 s[34:35], s[34:35]
	s_cbranch_execnz .LBB8_822
.LBB8_717:
	s_or_b64 exec, exec, s[34:35]
	v_mov_b32_e32 v6, 0
	s_and_saveexec_b64 s[34:35], s[30:31]
.LBB8_718:
	v_lshrrev_b32_e32 v2, 24, v2
	s_movk_i32 s30, 0x80
	v_and_or_b32 v6, v2, s30, v3
.LBB8_719:
	s_or_b64 exec, exec, s[34:35]
.LBB8_720:
	s_or_b64 exec, exec, s[28:29]
	global_store_byte v[4:5], v6, off
.LBB8_721:
	s_mov_b64 s[28:29], -1
.LBB8_722:
	s_mov_b64 s[30:31], 0
.LBB8_723:
	s_and_b64 vcc, exec, s[30:31]
	s_cbranch_vccz .LBB8_764
; %bb.724:
	s_cmp_gt_i32 s37, 22
	s_mov_b64 s[30:31], -1
	s_cbranch_scc0 .LBB8_756
; %bb.725:
	s_cmp_lt_i32 s37, 24
	s_mov_b64 s[28:29], -1
	s_cbranch_scc1 .LBB8_745
; %bb.726:
	s_cmp_gt_i32 s37, 24
	s_cbranch_scc0 .LBB8_734
; %bb.727:
	v_cvt_f32_f64_e32 v2, v[0:1]
	v_and_b32_e32 v3, 0x7fffffff, v2
	s_mov_b32 s28, 0x47800000
	v_cmp_gt_u32_e32 vcc, s28, v3
	v_mov_b32_e32 v6, 0x80
	s_and_saveexec_b64 s[28:29], vcc
	s_cbranch_execz .LBB8_733
; %bb.728:
	s_mov_b32 s30, 0x37ffffff
	v_cmp_lt_u32_e32 vcc, s30, v3
	s_mov_b64 s[30:31], 0
                                        ; implicit-def: $vgpr3
	s_and_saveexec_b64 s[34:35], vcc
	s_xor_b64 s[34:35], exec, s[34:35]
	s_cbranch_execz .LBB8_824
; %bb.729:
	v_bfe_u32 v3, v2, 21, 1
	s_mov_b32 s39, 0x88fffff
	v_add3_u32 v3, v2, v3, s39
	s_mov_b64 s[30:31], exec
	v_lshrrev_b32_e32 v3, 21, v3
	s_andn2_saveexec_b64 s[34:35], s[34:35]
	s_cbranch_execnz .LBB8_825
.LBB8_730:
	s_or_b64 exec, exec, s[34:35]
	v_mov_b32_e32 v6, 0
	s_and_saveexec_b64 s[34:35], s[30:31]
.LBB8_731:
	v_lshrrev_b32_e32 v2, 24, v2
	s_movk_i32 s30, 0x80
	v_and_or_b32 v6, v2, s30, v3
.LBB8_732:
	s_or_b64 exec, exec, s[34:35]
.LBB8_733:
	s_or_b64 exec, exec, s[28:29]
	s_mov_b64 s[28:29], 0
	global_store_byte v[4:5], v6, off
.LBB8_734:
	s_and_b64 vcc, exec, s[28:29]
	s_cbranch_vccz .LBB8_744
; %bb.735:
	v_cvt_f32_f64_e32 v2, v[0:1]
	v_and_b32_e32 v6, 0x7fffffff, v2
	s_mov_b32 s28, 0x43f00000
	v_cmp_gt_u32_e32 vcc, s28, v6
                                        ; implicit-def: $vgpr3
	s_and_saveexec_b64 s[28:29], vcc
	s_xor_b64 s[28:29], exec, s[28:29]
	s_cbranch_execz .LBB8_741
; %bb.736:
	s_mov_b32 s30, 0x3c7fffff
	v_cmp_lt_u32_e32 vcc, s30, v6
                                        ; implicit-def: $vgpr3
	s_and_saveexec_b64 s[30:31], vcc
	s_xor_b64 s[30:31], exec, s[30:31]
; %bb.737:
	v_bfe_u32 v3, v2, 20, 1
	s_mov_b32 s34, 0x407ffff
	v_add3_u32 v3, v2, v3, s34
	v_lshrrev_b32_e32 v6, 20, v3
	v_and_b32_e32 v3, 0xff00000, v3
	s_mov_b32 s34, 0x7f00000
	v_mov_b32_e32 v7, 0x7e
	v_cmp_ne_u32_e32 vcc, s34, v3
	s_nop 1
	v_cndmask_b32_e32 v3, v7, v6, vcc
; %bb.738:
	s_andn2_saveexec_b64 s[30:31], s[30:31]
; %bb.739:
	s_mov_b32 s34, 0x46800000
	v_add_f32_e64 v3, |v2|, s34
; %bb.740:
	s_or_b64 exec, exec, s[30:31]
                                        ; implicit-def: $vgpr6
.LBB8_741:
	s_andn2_saveexec_b64 s[28:29], s[28:29]
; %bb.742:
	s_mov_b32 s30, 0x7f800000
	v_mov_b32_e32 v3, 0x7e
	v_mov_b32_e32 v7, 0x7f
	v_cmp_lt_u32_e32 vcc, s30, v6
	s_nop 1
	v_cndmask_b32_e32 v3, v3, v7, vcc
; %bb.743:
	s_or_b64 exec, exec, s[28:29]
	v_lshrrev_b32_e32 v2, 24, v2
	s_movk_i32 s28, 0x80
	v_and_or_b32 v2, v2, s28, v3
	global_store_byte v[4:5], v2, off
.LBB8_744:
	s_mov_b64 s[28:29], 0
.LBB8_745:
	s_andn2_b64 vcc, exec, s[28:29]
	s_cbranch_vccnz .LBB8_755
; %bb.746:
	v_cvt_f32_f64_e32 v2, v[0:1]
	v_and_b32_e32 v6, 0x7fffffff, v2
	s_mov_b32 s28, 0x47800000
	v_cmp_gt_u32_e32 vcc, s28, v6
                                        ; implicit-def: $vgpr3
	s_and_saveexec_b64 s[28:29], vcc
	s_xor_b64 s[28:29], exec, s[28:29]
	s_cbranch_execz .LBB8_752
; %bb.747:
	s_mov_b32 s30, 0x387fffff
	v_cmp_lt_u32_e32 vcc, s30, v6
                                        ; implicit-def: $vgpr3
	s_and_saveexec_b64 s[30:31], vcc
	s_xor_b64 s[30:31], exec, s[30:31]
; %bb.748:
	v_bfe_u32 v3, v2, 21, 1
	s_mov_b32 s34, 0x80fffff
	v_add3_u32 v3, v2, v3, s34
	v_lshrrev_b32_e32 v3, 21, v3
; %bb.749:
	s_andn2_saveexec_b64 s[30:31], s[30:31]
; %bb.750:
	s_mov_b32 s34, 0x43000000
	v_add_f32_e64 v3, |v2|, s34
; %bb.751:
	s_or_b64 exec, exec, s[30:31]
                                        ; implicit-def: $vgpr6
.LBB8_752:
	s_andn2_saveexec_b64 s[28:29], s[28:29]
; %bb.753:
	s_mov_b32 s30, 0x7f800000
	v_mov_b32_e32 v3, 0x7c
	v_mov_b32_e32 v7, 0x7f
	v_cmp_lt_u32_e32 vcc, s30, v6
	s_nop 1
	v_cndmask_b32_e32 v3, v3, v7, vcc
; %bb.754:
	s_or_b64 exec, exec, s[28:29]
	v_lshrrev_b32_e32 v2, 24, v2
	s_movk_i32 s28, 0x80
	v_and_or_b32 v2, v2, s28, v3
	global_store_byte v[4:5], v2, off
.LBB8_755:
	s_mov_b64 s[30:31], 0
	s_mov_b64 s[28:29], -1
.LBB8_756:
	s_andn2_b64 vcc, exec, s[30:31]
	s_cbranch_vccnz .LBB8_764
; %bb.757:
	s_cmp_gt_i32 s37, 14
	s_mov_b64 s[30:31], -1
	s_cbranch_scc0 .LBB8_761
; %bb.758:
	s_cmp_eq_u32 s37, 15
	s_mov_b64 s[0:1], -1
	s_cbranch_scc0 .LBB8_760
; %bb.759:
	v_cvt_f32_f64_e32 v2, v[0:1]
	v_bfe_u32 v3, v2, 16, 1
	s_movk_i32 s0, 0x7fff
	v_add3_u32 v3, v2, v3, s0
	v_cmp_o_f32_e32 vcc, v2, v2
	v_mov_b32_e32 v2, 0x7fc0
	s_mov_b64 s[28:29], -1
	v_cndmask_b32_sdwa v2, v2, v3, vcc dst_sel:DWORD dst_unused:UNUSED_PAD src0_sel:DWORD src1_sel:WORD_1
	global_store_short v[4:5], v2, off
	s_mov_b64 s[0:1], 0
.LBB8_760:
	s_mov_b64 s[30:31], 0
.LBB8_761:
	s_and_b64 vcc, exec, s[30:31]
	s_cbranch_vccz .LBB8_764
; %bb.762:
	s_cmp_eq_u32 s37, 11
	s_mov_b64 s[0:1], -1
	s_cbranch_scc0 .LBB8_764
; %bb.763:
	v_cmp_neq_f64_e32 vcc, 0, v[0:1]
	s_mov_b64 s[0:1], 0
	s_mov_b64 s[28:29], -1
	v_cndmask_b32_e64 v2, 0, 1, vcc
	global_store_byte v[4:5], v2, off
.LBB8_764:
	s_mov_b64 s[30:31], 0
.LBB8_765:
	s_and_b64 vcc, exec, s[30:31]
	s_cbranch_vccz .LBB8_804
; %bb.766:
	s_and_b32 s30, 0xffff, s36
	s_cmp_lt_i32 s30, 5
	s_mov_b64 s[28:29], -1
	s_cbranch_scc1 .LBB8_787
; %bb.767:
	s_cmp_lt_i32 s30, 8
	s_cbranch_scc1 .LBB8_777
; %bb.768:
	s_cmp_lt_i32 s30, 9
	s_cbranch_scc1 .LBB8_774
; %bb.769:
	s_cmp_gt_i32 s30, 9
	s_cbranch_scc0 .LBB8_771
; %bb.770:
	v_mov_b32_e32 v2, 0
	v_mov_b32_e32 v3, v2
	s_mov_b64 s[28:29], 0
	global_store_dwordx4 v[4:5], v[0:3], off
.LBB8_771:
	s_andn2_b64 vcc, exec, s[28:29]
	s_cbranch_vccnz .LBB8_773
; %bb.772:
	v_cvt_f32_f64_e32 v2, v[0:1]
	v_mov_b32_e32 v3, 0
	global_store_dwordx2 v[4:5], v[2:3], off
.LBB8_773:
	s_mov_b64 s[28:29], 0
.LBB8_774:
	s_andn2_b64 vcc, exec, s[28:29]
	s_cbranch_vccnz .LBB8_776
; %bb.775:
	s_movk_i32 s28, 0x1ff
	v_and_or_b32 v2, v1, s28, v0
	v_cmp_ne_u32_e32 vcc, 0, v2
	v_lshrrev_b32_e32 v3, 8, v1
	s_movk_i32 s28, 0xffe
	v_cndmask_b32_e64 v2, 0, 1, vcc
	v_bfe_u32 v6, v1, 20, 11
	v_and_or_b32 v2, v3, s28, v2
	v_sub_u32_e32 v7, 0x3f1, v6
	v_or_b32_e32 v3, 0x1000, v2
	v_med3_i32 v7, v7, 0, 13
	v_lshrrev_b32_e32 v8, v7, v3
	v_lshlrev_b32_e32 v7, v7, v8
	v_cmp_ne_u32_e32 vcc, v7, v3
	v_add_u32_e32 v6, 0xfffffc10, v6
	v_lshl_or_b32 v7, v6, 12, v2
	v_cndmask_b32_e64 v3, 0, 1, vcc
	v_or_b32_e32 v3, v8, v3
	v_cmp_gt_i32_e32 vcc, 1, v6
	s_movk_i32 s28, 0x40f
	s_nop 0
	v_cndmask_b32_e32 v3, v7, v3, vcc
	v_and_b32_e32 v7, 7, v3
	v_cmp_lt_i32_e32 vcc, 5, v7
	v_lshrrev_b32_e32 v3, 2, v3
	s_nop 0
	v_cndmask_b32_e64 v8, 0, 1, vcc
	v_cmp_eq_u32_e32 vcc, 3, v7
	s_nop 1
	v_cndmask_b32_e64 v7, 0, 1, vcc
	v_or_b32_e32 v7, v7, v8
	v_add_u32_e32 v3, v3, v7
	v_mov_b32_e32 v7, 0x7c00
	v_cmp_gt_i32_e32 vcc, 31, v6
	v_mov_b32_e32 v8, 0x7e00
	s_nop 0
	v_cndmask_b32_e32 v3, v7, v3, vcc
	v_cmp_ne_u32_e32 vcc, 0, v2
	s_nop 1
	v_cndmask_b32_e32 v2, v7, v8, vcc
	v_cmp_eq_u32_e32 vcc, s28, v6
	s_mov_b32 s28, 0x8000
	s_nop 0
	v_cndmask_b32_e32 v2, v3, v2, vcc
	v_and_b32_sdwa v3, v1, s28 dst_sel:DWORD dst_unused:UNUSED_PAD src0_sel:WORD_1 src1_sel:DWORD
	s_mov_b32 s28, 0xffff
	v_bitop3_b32 v2, v3, s28, v2 bitop3:0xc8
	global_store_dword v[4:5], v2, off
.LBB8_776:
	s_mov_b64 s[28:29], 0
.LBB8_777:
	s_andn2_b64 vcc, exec, s[28:29]
	s_cbranch_vccnz .LBB8_786
; %bb.778:
	s_cmp_lt_i32 s30, 6
	s_mov_b64 s[28:29], -1
	s_cbranch_scc1 .LBB8_784
; %bb.779:
	s_cmp_gt_i32 s30, 6
	s_cbranch_scc0 .LBB8_781
; %bb.780:
	s_mov_b64 s[28:29], 0
	global_store_dwordx2 v[4:5], v[0:1], off
.LBB8_781:
	s_andn2_b64 vcc, exec, s[28:29]
	s_cbranch_vccnz .LBB8_783
; %bb.782:
	v_cvt_f32_f64_e32 v2, v[0:1]
	global_store_dword v[4:5], v2, off
.LBB8_783:
	s_mov_b64 s[28:29], 0
.LBB8_784:
	s_andn2_b64 vcc, exec, s[28:29]
	s_cbranch_vccnz .LBB8_786
; %bb.785:
	s_movk_i32 s28, 0x1ff
	v_and_or_b32 v2, v1, s28, v0
	v_cmp_ne_u32_e32 vcc, 0, v2
	v_lshrrev_b32_e32 v3, 8, v1
	s_movk_i32 s28, 0xffe
	v_cndmask_b32_e64 v2, 0, 1, vcc
	v_bfe_u32 v6, v1, 20, 11
	v_and_or_b32 v2, v3, s28, v2
	v_sub_u32_e32 v7, 0x3f1, v6
	v_or_b32_e32 v3, 0x1000, v2
	v_med3_i32 v7, v7, 0, 13
	v_lshrrev_b32_e32 v8, v7, v3
	v_lshlrev_b32_e32 v7, v7, v8
	v_cmp_ne_u32_e32 vcc, v7, v3
	v_add_u32_e32 v6, 0xfffffc10, v6
	v_lshl_or_b32 v7, v6, 12, v2
	v_cndmask_b32_e64 v3, 0, 1, vcc
	v_or_b32_e32 v3, v8, v3
	v_cmp_gt_i32_e32 vcc, 1, v6
	s_movk_i32 s28, 0x40f
	s_nop 0
	v_cndmask_b32_e32 v3, v7, v3, vcc
	v_and_b32_e32 v7, 7, v3
	v_cmp_lt_i32_e32 vcc, 5, v7
	v_lshrrev_b32_e32 v3, 2, v3
	s_nop 0
	v_cndmask_b32_e64 v8, 0, 1, vcc
	v_cmp_eq_u32_e32 vcc, 3, v7
	s_nop 1
	v_cndmask_b32_e64 v7, 0, 1, vcc
	v_or_b32_e32 v7, v7, v8
	v_add_u32_e32 v3, v3, v7
	v_mov_b32_e32 v7, 0x7c00
	v_cmp_gt_i32_e32 vcc, 31, v6
	v_mov_b32_e32 v8, 0x7e00
	s_nop 0
	v_cndmask_b32_e32 v3, v7, v3, vcc
	v_cmp_ne_u32_e32 vcc, 0, v2
	s_nop 1
	v_cndmask_b32_e32 v2, v7, v8, vcc
	v_cmp_eq_u32_e32 vcc, s28, v6
	s_mov_b32 s28, 0x8000
	s_nop 0
	v_cndmask_b32_e32 v2, v3, v2, vcc
	v_lshrrev_b32_e32 v3, 16, v1
	v_and_or_b32 v2, v3, s28, v2
	global_store_short v[4:5], v2, off
.LBB8_786:
	s_mov_b64 s[28:29], 0
.LBB8_787:
	s_andn2_b64 vcc, exec, s[28:29]
	s_cbranch_vccnz .LBB8_803
; %bb.788:
	s_cmp_lt_i32 s30, 2
	s_mov_b64 s[28:29], -1
	s_cbranch_scc1 .LBB8_798
; %bb.789:
	s_cmp_lt_i32 s30, 3
	s_cbranch_scc1 .LBB8_795
; %bb.790:
	s_cmp_gt_i32 s30, 3
	s_cbranch_scc0 .LBB8_792
; %bb.791:
	v_trunc_f64_e32 v[2:3], v[0:1]
	s_movk_i32 s28, 0xffe0
	v_ldexp_f64 v[6:7], v[2:3], s28
	v_floor_f64_e32 v[6:7], v[6:7]
	v_fmac_f64_e32 v[2:3], 0xc1f00000, v[6:7]
	v_cvt_i32_f64_e32 v9, v[6:7]
	v_cvt_u32_f64_e32 v8, v[2:3]
	s_mov_b64 s[28:29], 0
	global_store_dwordx2 v[4:5], v[8:9], off
.LBB8_792:
	s_andn2_b64 vcc, exec, s[28:29]
	s_cbranch_vccnz .LBB8_794
; %bb.793:
	v_cvt_i32_f64_e32 v2, v[0:1]
	global_store_dword v[4:5], v2, off
.LBB8_794:
	s_mov_b64 s[28:29], 0
.LBB8_795:
	s_andn2_b64 vcc, exec, s[28:29]
	s_cbranch_vccnz .LBB8_797
; %bb.796:
	v_cvt_i32_f64_e32 v2, v[0:1]
	global_store_short v[4:5], v2, off
.LBB8_797:
	s_mov_b64 s[28:29], 0
.LBB8_798:
	s_andn2_b64 vcc, exec, s[28:29]
	s_cbranch_vccnz .LBB8_803
; %bb.799:
	s_cmp_gt_i32 s30, 0
	s_mov_b64 s[28:29], -1
	s_cbranch_scc0 .LBB8_801
; %bb.800:
	v_cvt_i32_f64_e32 v2, v[0:1]
	s_mov_b64 s[28:29], 0
	global_store_byte v[4:5], v2, off
.LBB8_801:
	s_andn2_b64 vcc, exec, s[28:29]
	s_cbranch_vccnz .LBB8_803
; %bb.802:
	v_trunc_f64_e32 v[0:1], v[0:1]
	s_movk_i32 s28, 0xffe0
	v_ldexp_f64 v[2:3], v[0:1], s28
	v_floor_f64_e32 v[2:3], v[2:3]
	v_fmac_f64_e32 v[0:1], 0xc1f00000, v[2:3]
	v_cvt_u32_f64_e32 v0, v[0:1]
	global_store_byte v[4:5], v0, off
.LBB8_803:
	s_mov_b64 s[28:29], -1
.LBB8_804:
	s_andn2_b64 vcc, exec, s[28:29]
	s_cbranch_vccnz .LBB8_806
; %bb.805:
	v_add_u32_e32 v14, 0x80, v14
	s_mov_b64 s[30:31], -1
	s_branch .LBB8_807
.LBB8_806:
	s_mov_b64 s[30:31], 0
                                        ; implicit-def: $vgpr14
.LBB8_807:
	s_andn2_b64 s[28:29], s[20:21], exec
	s_and_b64 s[0:1], s[0:1], exec
	s_or_b64 s[28:29], s[28:29], s[0:1]
	s_andn2_b64 s[0:1], s[18:19], exec
	s_and_b64 s[26:27], s[26:27], exec
	s_or_b64 s[0:1], s[0:1], s[26:27]
	s_orn2_b64 s[34:35], s[30:31], exec
.LBB8_808:
	s_or_b64 exec, exec, s[24:25]
	s_mov_b64 s[30:31], 0
	s_mov_b64 s[26:27], 0
	;; [unrolled: 1-line block ×3, first 2 shown]
                                        ; implicit-def: $vgpr0_vgpr1
                                        ; implicit-def: $vgpr2_vgpr3
	s_and_saveexec_b64 s[24:25], s[34:35]
	s_cbranch_execz .LBB8_893
; %bb.809:
	v_cmp_gt_i32_e32 vcc, s38, v14
	s_mov_b64 s[34:35], 0
	s_mov_b64 s[38:39], s[0:1]
	;; [unrolled: 1-line block ×3, first 2 shown]
                                        ; implicit-def: $vgpr0_vgpr1
                                        ; implicit-def: $vgpr2_vgpr3
	s_and_saveexec_b64 s[26:27], vcc
	s_cbranch_execz .LBB8_892
; %bb.810:
	v_mul_lo_u32 v0, v14, s9
	v_ashrrev_i32_e32 v1, 31, v0
	s_and_b32 s43, 0xffff, s42
	s_cmp_lt_i32 s43, 11
	v_lshl_add_u64 v[0:1], s[6:7], 0, v[0:1]
	s_cbranch_scc1 .LBB8_817
; %bb.811:
	s_cmp_gt_i32 s43, 25
	s_cbranch_scc0 .LBB8_818
; %bb.812:
	s_cmp_gt_i32 s43, 28
	s_cbranch_scc0 .LBB8_819
	;; [unrolled: 3-line block ×4, first 2 shown]
; %bb.815:
	s_cmp_eq_u32 s43, 46
	s_mov_b64 s[38:39], 0
	s_cbranch_scc0 .LBB8_826
; %bb.816:
	global_load_dword v2, v[0:1], off
	s_mov_b64 s[36:37], -1
	s_waitcnt vmcnt(0)
	v_lshlrev_b32_e32 v2, 16, v2
	v_cvt_f64_f32_e32 v[2:3], v2
	s_branch .LBB8_828
.LBB8_817:
	s_mov_b64 s[38:39], -1
                                        ; implicit-def: $vgpr2_vgpr3
	s_mov_b64 s[30:31], s[0:1]
	s_branch .LBB8_891
.LBB8_818:
	s_mov_b64 s[38:39], -1
	s_mov_b64 s[30:31], s[0:1]
                                        ; implicit-def: $vgpr2_vgpr3
	s_branch .LBB8_859
.LBB8_819:
	s_mov_b64 s[38:39], -1
	s_mov_b64 s[30:31], s[0:1]
                                        ; implicit-def: $vgpr2_vgpr3
	s_branch .LBB8_838
.LBB8_820:
	s_mov_b64 s[38:39], -1
	s_mov_b64 s[30:31], s[0:1]
                                        ; implicit-def: $vgpr2_vgpr3
	s_branch .LBB8_833
.LBB8_821:
	s_andn2_saveexec_b64 s[34:35], s[34:35]
	s_cbranch_execz .LBB8_717
.LBB8_822:
	s_mov_b32 s39, 0x46000000
	v_add_f32_e64 v3, |v2|, s39
	v_and_b32_e32 v3, 0xff, v3
	v_cmp_ne_u32_e32 vcc, 0, v3
	s_andn2_b64 s[30:31], s[30:31], exec
	s_and_b64 s[40:41], vcc, exec
	s_or_b64 s[30:31], s[30:31], s[40:41]
	s_or_b64 exec, exec, s[34:35]
	v_mov_b32_e32 v6, 0
	s_and_saveexec_b64 s[34:35], s[30:31]
	s_cbranch_execnz .LBB8_718
	s_branch .LBB8_719
.LBB8_823:
	s_mov_b64 s[38:39], -1
	s_mov_b64 s[30:31], s[0:1]
	s_branch .LBB8_827
.LBB8_824:
	s_andn2_saveexec_b64 s[34:35], s[34:35]
	s_cbranch_execz .LBB8_730
.LBB8_825:
	s_mov_b32 s39, 0x42800000
	v_add_f32_e64 v3, |v2|, s39
	v_and_b32_e32 v3, 0xff, v3
	v_cmp_ne_u32_e32 vcc, 0, v3
	s_andn2_b64 s[30:31], s[30:31], exec
	s_and_b64 s[40:41], vcc, exec
	s_or_b64 s[30:31], s[30:31], s[40:41]
	s_or_b64 exec, exec, s[34:35]
	v_mov_b32_e32 v6, 0
	s_and_saveexec_b64 s[34:35], s[30:31]
	s_cbranch_execnz .LBB8_731
	s_branch .LBB8_732
.LBB8_826:
	s_mov_b64 s[30:31], -1
.LBB8_827:
                                        ; implicit-def: $vgpr2_vgpr3
.LBB8_828:
	s_and_b64 vcc, exec, s[38:39]
	s_cbranch_vccz .LBB8_832
; %bb.829:
	s_cmp_eq_u32 s43, 44
	s_cbranch_scc0 .LBB8_831
; %bb.830:
	global_load_ubyte v4, v[0:1], off
	s_movk_i32 s36, 0xff
	v_bfrev_b32_e32 v5, 4
	v_mov_b32_e32 v6, 0x7ff80000
	v_bfrev_b32_e32 v7, 28
	s_mov_b64 s[30:31], 0
	s_waitcnt vmcnt(0)
	v_lshlrev_b32_e32 v2, 23, v4
	v_cvt_f64_f32_e32 v[2:3], v2
	v_cmp_ne_u32_e32 vcc, s36, v4
	s_mov_b64 s[36:37], -1
	s_nop 0
	v_cndmask_b32_e32 v2, v5, v2, vcc
	v_cndmask_b32_e32 v3, v6, v3, vcc
	v_cmp_ne_u32_e32 vcc, 0, v4
	s_nop 1
	v_cndmask_b32_e32 v3, v7, v3, vcc
	v_cndmask_b32_e32 v2, 0, v2, vcc
	s_branch .LBB8_832
.LBB8_831:
	s_mov_b64 s[30:31], -1
                                        ; implicit-def: $vgpr2_vgpr3
.LBB8_832:
	s_mov_b64 s[38:39], 0
.LBB8_833:
	s_and_b64 vcc, exec, s[38:39]
	s_cbranch_vccz .LBB8_837
; %bb.834:
	s_cmp_eq_u32 s43, 29
	s_cbranch_scc0 .LBB8_836
; %bb.835:
	global_load_dwordx2 v[2:3], v[0:1], off
	s_mov_b64 s[30:31], 0
	s_mov_b64 s[36:37], -1
	s_mov_b64 s[38:39], 0
	s_waitcnt vmcnt(0)
	v_cvt_f64_u32_e32 v[4:5], v3
	v_cvt_f64_u32_e32 v[2:3], v2
	v_ldexp_f64 v[4:5], v[4:5], 32
	v_add_f64 v[2:3], v[4:5], v[2:3]
	s_branch .LBB8_838
.LBB8_836:
	s_mov_b64 s[30:31], -1
                                        ; implicit-def: $vgpr2_vgpr3
.LBB8_837:
	s_mov_b64 s[38:39], 0
.LBB8_838:
	s_and_b64 vcc, exec, s[38:39]
	s_cbranch_vccz .LBB8_858
; %bb.839:
	s_cmp_lt_i32 s43, 27
	s_cbranch_scc1 .LBB8_842
; %bb.840:
	s_cmp_gt_i32 s43, 27
	s_cbranch_scc0 .LBB8_843
; %bb.841:
	global_load_dword v2, v[0:1], off
	s_mov_b64 s[36:37], 0
	s_waitcnt vmcnt(0)
	v_cvt_f64_u32_e32 v[2:3], v2
	s_branch .LBB8_844
.LBB8_842:
	s_mov_b64 s[36:37], -1
                                        ; implicit-def: $vgpr2_vgpr3
	s_branch .LBB8_847
.LBB8_843:
	s_mov_b64 s[36:37], -1
                                        ; implicit-def: $vgpr2_vgpr3
.LBB8_844:
	s_andn2_b64 vcc, exec, s[36:37]
	s_cbranch_vccnz .LBB8_846
; %bb.845:
	global_load_ushort v2, v[0:1], off
	s_waitcnt vmcnt(0)
	v_cvt_f64_u32_e32 v[2:3], v2
.LBB8_846:
	s_mov_b64 s[36:37], 0
.LBB8_847:
	s_andn2_b64 vcc, exec, s[36:37]
	s_cbranch_vccnz .LBB8_857
; %bb.848:
	global_load_ubyte v4, v[0:1], off
	s_movk_i32 s36, 0x7f
	s_waitcnt vmcnt(0)
	v_cmp_lt_i16_e32 vcc, s36, v4
	s_mov_b64 s[36:37], 0
	s_and_saveexec_b64 s[38:39], vcc
	s_xor_b64 s[38:39], exec, s[38:39]
	s_cbranch_execz .LBB8_852
; %bb.849:
	s_movk_i32 s36, 0x80
	v_cmp_eq_u16_e32 vcc, s36, v4
	s_mov_b64 s[36:37], -1
	s_and_saveexec_b64 s[40:41], vcc
; %bb.850:
	s_xor_b64 s[36:37], exec, -1
; %bb.851:
	s_or_b64 exec, exec, s[40:41]
	s_and_b64 s[36:37], s[36:37], exec
.LBB8_852:
	s_or_saveexec_b64 s[38:39], s[38:39]
	v_bfrev_b32_e32 v2, 4
	v_mov_b32_e32 v3, 0x7ff80000
	s_xor_b64 exec, exec, s[38:39]
; %bb.853:
	v_cmp_ne_u16_e32 vcc, 0, v4
	s_andn2_b64 s[36:37], s[36:37], exec
	s_and_b64 s[40:41], vcc, exec
	v_mov_b64_e32 v[2:3], 0
	s_or_b64 s[36:37], s[36:37], s[40:41]
; %bb.854:
	s_or_b64 exec, exec, s[38:39]
	s_and_saveexec_b64 s[38:39], s[36:37]
	s_cbranch_execz .LBB8_856
; %bb.855:
	v_and_b32_e32 v3, 0xffff, v4
	v_lshlrev_b32_e32 v2, 24, v4
	v_and_b32_e32 v4, 7, v3
	v_ffbh_u32_e32 v6, v4
	v_min_u32_e32 v6, 32, v6
	v_subrev_u32_e32 v7, 28, v6
	v_bfe_u32 v5, v3, 3, 4
	v_lshlrev_b32_e32 v3, v7, v3
	v_sub_u32_e32 v6, 29, v6
	v_and_b32_e32 v3, 7, v3
	v_cmp_eq_u32_e32 vcc, 0, v5
	v_and_b32_e32 v2, 0x80000000, v2
	s_nop 0
	v_cndmask_b32_e32 v5, v5, v6, vcc
	v_cndmask_b32_e32 v3, v4, v3, vcc
	v_mov_b32_e32 v4, 0x3b800000
	v_lshlrev_b32_e32 v3, 20, v3
	v_lshl_add_u32 v4, v5, 23, v4
	v_or3_b32 v2, v2, v4, v3
	v_cvt_f64_f32_e32 v[2:3], v2
.LBB8_856:
	s_or_b64 exec, exec, s[38:39]
.LBB8_857:
	s_mov_b64 s[36:37], -1
.LBB8_858:
	s_mov_b64 s[38:39], 0
.LBB8_859:
	s_and_b64 vcc, exec, s[38:39]
	s_cbranch_vccz .LBB8_890
; %bb.860:
	s_cmp_gt_i32 s43, 22
	s_cbranch_scc0 .LBB8_872
; %bb.861:
	s_cmp_lt_i32 s43, 24
	s_cbranch_scc1 .LBB8_873
; %bb.862:
	s_cmp_gt_i32 s43, 24
	s_cbranch_scc0 .LBB8_874
; %bb.863:
	global_load_ubyte v4, v[0:1], off
	s_movk_i32 s34, 0x7f
	s_waitcnt vmcnt(0)
	v_cmp_lt_i16_e32 vcc, s34, v4
	s_mov_b64 s[34:35], 0
	s_and_saveexec_b64 s[36:37], vcc
	s_xor_b64 s[36:37], exec, s[36:37]
	s_cbranch_execz .LBB8_867
; %bb.864:
	s_movk_i32 s34, 0x80
	v_cmp_eq_u16_e32 vcc, s34, v4
	s_mov_b64 s[34:35], -1
	s_and_saveexec_b64 s[38:39], vcc
; %bb.865:
	s_xor_b64 s[34:35], exec, -1
; %bb.866:
	s_or_b64 exec, exec, s[38:39]
	s_and_b64 s[34:35], s[34:35], exec
.LBB8_867:
	s_or_saveexec_b64 s[36:37], s[36:37]
	v_bfrev_b32_e32 v2, 4
	v_mov_b32_e32 v3, 0x7ff80000
	s_xor_b64 exec, exec, s[36:37]
; %bb.868:
	v_cmp_ne_u16_e32 vcc, 0, v4
	s_andn2_b64 s[34:35], s[34:35], exec
	s_and_b64 s[38:39], vcc, exec
	v_mov_b64_e32 v[2:3], 0
	s_or_b64 s[34:35], s[34:35], s[38:39]
; %bb.869:
	s_or_b64 exec, exec, s[36:37]
	s_and_saveexec_b64 s[36:37], s[34:35]
	s_cbranch_execz .LBB8_871
; %bb.870:
	v_and_b32_e32 v3, 0xffff, v4
	v_lshlrev_b32_e32 v2, 24, v4
	v_and_b32_e32 v4, 3, v3
	v_ffbh_u32_e32 v6, v4
	v_min_u32_e32 v6, 32, v6
	v_subrev_u32_e32 v7, 29, v6
	v_bfe_u32 v5, v3, 2, 5
	v_lshlrev_b32_e32 v3, v7, v3
	v_sub_u32_e32 v6, 30, v6
	v_and_b32_e32 v3, 3, v3
	v_cmp_eq_u32_e32 vcc, 0, v5
	v_and_b32_e32 v2, 0x80000000, v2
	s_nop 0
	v_cndmask_b32_e32 v5, v5, v6, vcc
	v_cndmask_b32_e32 v3, v4, v3, vcc
	v_mov_b32_e32 v4, 0x37800000
	v_lshlrev_b32_e32 v3, 21, v3
	v_lshl_add_u32 v4, v5, 23, v4
	v_or3_b32 v2, v2, v4, v3
	v_cvt_f64_f32_e32 v[2:3], v2
.LBB8_871:
	s_or_b64 exec, exec, s[36:37]
	s_mov_b64 s[34:35], 0
	s_branch .LBB8_875
.LBB8_872:
	s_mov_b64 s[34:35], -1
                                        ; implicit-def: $vgpr2_vgpr3
	s_branch .LBB8_881
.LBB8_873:
	s_mov_b64 s[34:35], -1
                                        ; implicit-def: $vgpr2_vgpr3
	s_branch .LBB8_878
.LBB8_874:
	s_mov_b64 s[34:35], -1
                                        ; implicit-def: $vgpr2_vgpr3
.LBB8_875:
	s_and_b64 vcc, exec, s[34:35]
	s_cbranch_vccz .LBB8_877
; %bb.876:
	global_load_ubyte v2, v[0:1], off
	s_mov_b32 s34, 0x7f800000
	s_waitcnt vmcnt(0)
	v_lshlrev_b32_e32 v2, 24, v2
	v_and_b32_e32 v3, 0x7f000000, v2
	v_ffbh_u32_e32 v4, v3
	v_min_u32_e32 v4, 32, v4
	v_sub_u32_e64 v4, v4, 4 clamp
	v_lshlrev_b32_e32 v6, v4, v3
	v_lshlrev_b32_e32 v4, 23, v4
	v_lshrrev_b32_e32 v6, 4, v6
	v_add_u32_e32 v5, 0x1000000, v3
	v_sub_u32_e32 v4, v6, v4
	v_ashrrev_i32_e32 v5, 8, v5
	v_add_u32_e32 v4, 0x3c000000, v4
	v_and_or_b32 v4, v5, s34, v4
	v_cmp_ne_u32_e32 vcc, 0, v3
	s_brev_b32 s34, 1
	s_nop 0
	v_cndmask_b32_e32 v3, 0, v4, vcc
	v_and_or_b32 v2, v2, s34, v3
	v_cvt_f64_f32_e32 v[2:3], v2
.LBB8_877:
	s_mov_b64 s[34:35], 0
.LBB8_878:
	s_andn2_b64 vcc, exec, s[34:35]
	s_cbranch_vccnz .LBB8_880
; %bb.879:
	global_load_ubyte v2, v[0:1], off
	s_movk_i32 s34, 0x7f00
	s_brev_b32 s35, 16
	s_waitcnt vmcnt(0)
	v_lshlrev_b16_e32 v3, 8, v2
	v_lshlrev_b32_e32 v2, 25, v2
	v_lshrrev_b32_e32 v4, 4, v2
	v_and_or_b32 v5, v3, s34, 0.5
	v_or_b32_e32 v4, 0x70000000, v4
	v_add_f32_e32 v5, -0.5, v5
	v_mul_f32_e32 v4, 0x7800000, v4
	v_cmp_gt_u32_e32 vcc, s35, v2
	v_bfe_i32 v3, v3, 0, 16
	s_brev_b32 s34, 1
	v_cndmask_b32_e32 v2, v4, v5, vcc
	v_and_or_b32 v2, v3, s34, v2
	v_cvt_f64_f32_e32 v[2:3], v2
.LBB8_880:
	s_mov_b64 s[34:35], 0
	s_mov_b64 s[36:37], -1
.LBB8_881:
	s_andn2_b64 vcc, exec, s[34:35]
	s_mov_b64 s[34:35], 0
	s_cbranch_vccnz .LBB8_890
; %bb.882:
	s_cmp_gt_i32 s43, 14
	s_cbranch_scc0 .LBB8_885
; %bb.883:
	s_cmp_eq_u32 s43, 15
	s_cbranch_scc0 .LBB8_886
; %bb.884:
	global_load_ushort v2, v[0:1], off
	s_mov_b64 s[30:31], 0
	s_mov_b64 s[36:37], -1
	s_waitcnt vmcnt(0)
	v_lshlrev_b32_e32 v2, 16, v2
	v_cvt_f64_f32_e32 v[2:3], v2
	s_branch .LBB8_887
.LBB8_885:
	s_mov_b64 s[38:39], -1
                                        ; implicit-def: $vgpr2_vgpr3
	s_branch .LBB8_888
.LBB8_886:
	s_mov_b64 s[30:31], -1
                                        ; implicit-def: $vgpr2_vgpr3
.LBB8_887:
	s_mov_b64 s[38:39], 0
.LBB8_888:
	s_and_b64 vcc, exec, s[38:39]
	s_cbranch_vccz .LBB8_890
; %bb.889:
	s_cmp_lg_u32 s43, 11
	s_cselect_b64 s[38:39], -1, 0
	s_andn2_b64 s[30:31], s[30:31], exec
	s_and_b64 s[38:39], s[38:39], exec
	s_mov_b64 s[34:35], -1
	s_or_b64 s[30:31], s[30:31], s[38:39]
.LBB8_890:
	s_mov_b64 s[38:39], 0
.LBB8_891:
	s_and_b64 s[40:41], s[38:39], exec
	s_andn2_b64 s[38:39], s[0:1], exec
	s_and_b64 s[30:31], s[30:31], exec
	s_and_b64 s[36:37], s[36:37], exec
	;; [unrolled: 1-line block ×3, first 2 shown]
	s_or_b64 s[38:39], s[38:39], s[30:31]
.LBB8_892:
	s_or_b64 exec, exec, s[26:27]
	s_and_b64 s[30:31], s[34:35], exec
	s_andn2_b64 s[0:1], s[0:1], exec
	s_and_b64 s[34:35], s[38:39], exec
	s_and_b64 s[36:37], s[36:37], exec
	;; [unrolled: 1-line block ×3, first 2 shown]
	s_or_b64 s[0:1], s[0:1], s[34:35]
.LBB8_893:
	s_or_b64 exec, exec, s[24:25]
	s_andn2_b64 s[20:21], s[20:21], exec
	s_and_b64 s[24:25], s[28:29], exec
	s_andn2_b64 s[18:19], s[18:19], exec
	s_and_b64 s[0:1], s[0:1], exec
	s_or_b64 s[20:21], s[20:21], s[24:25]
	s_and_b64 s[28:29], s[36:37], exec
	s_and_b64 s[26:27], s[26:27], exec
	;; [unrolled: 1-line block ×3, first 2 shown]
	s_or_b64 s[18:19], s[18:19], s[0:1]
.LBB8_894:
	s_or_b64 exec, exec, s[22:23]
	s_andn2_b64 s[0:1], s[12:13], exec
	s_and_b64 s[12:13], s[20:21], exec
	s_andn2_b64 s[14:15], s[14:15], exec
	s_and_b64 s[18:19], s[18:19], exec
	s_or_b64 s[12:13], s[0:1], s[12:13]
	s_and_b64 s[0:1], s[28:29], exec
	s_and_b64 s[22:23], s[26:27], exec
	;; [unrolled: 1-line block ×3, first 2 shown]
	s_or_b64 s[14:15], s[14:15], s[18:19]
	s_or_b64 exec, exec, s[16:17]
	s_mov_b64 s[16:17], 0
	s_and_saveexec_b64 s[18:19], s[14:15]
	s_cbranch_execz .LBB8_274
.LBB8_895:
	s_mov_b64 s[16:17], exec
	s_andn2_b64 s[20:21], s[20:21], exec
	s_trap 2
	s_or_b64 exec, exec, s[18:19]
	s_and_saveexec_b64 s[14:15], s[20:21]
	s_xor_b64 s[14:15], exec, s[14:15]
	s_cbranch_execnz .LBB8_275
.LBB8_896:
	s_or_b64 exec, exec, s[14:15]
	s_and_saveexec_b64 s[14:15], s[22:23]
	s_cbranch_execz .LBB8_942
.LBB8_897:
	s_sext_i32_i16 s18, s42
	s_cmp_lt_i32 s18, 5
	s_cbranch_scc1 .LBB8_902
; %bb.898:
	s_cmp_lt_i32 s18, 8
	s_cbranch_scc1 .LBB8_903
; %bb.899:
	;; [unrolled: 3-line block ×3, first 2 shown]
	s_cmp_gt_i32 s18, 9
	s_cbranch_scc0 .LBB8_905
; %bb.901:
	global_load_dwordx2 v[2:3], v[0:1], off
	s_mov_b64 s[18:19], 0
	s_branch .LBB8_906
.LBB8_902:
                                        ; implicit-def: $vgpr2_vgpr3
	s_branch .LBB8_923
.LBB8_903:
                                        ; implicit-def: $vgpr2_vgpr3
	s_branch .LBB8_912
.LBB8_904:
	s_mov_b64 s[18:19], -1
                                        ; implicit-def: $vgpr2_vgpr3
	s_branch .LBB8_909
.LBB8_905:
	s_mov_b64 s[18:19], -1
                                        ; implicit-def: $vgpr2_vgpr3
.LBB8_906:
	s_andn2_b64 vcc, exec, s[18:19]
	s_cbranch_vccnz .LBB8_908
; %bb.907:
	global_load_dword v2, v[0:1], off
	s_waitcnt vmcnt(0)
	v_cvt_f64_f32_e32 v[2:3], v2
.LBB8_908:
	s_mov_b64 s[18:19], 0
.LBB8_909:
	s_andn2_b64 vcc, exec, s[18:19]
	s_cbranch_vccnz .LBB8_911
; %bb.910:
	global_load_dword v2, v[0:1], off
	s_waitcnt vmcnt(0)
	v_cvt_f32_f16_e32 v2, v2
	v_cvt_f64_f32_e32 v[2:3], v2
.LBB8_911:
	s_cbranch_execnz .LBB8_922
.LBB8_912:
	s_sext_i32_i16 s18, s42
	s_cmp_lt_i32 s18, 6
	s_cbranch_scc1 .LBB8_915
; %bb.913:
	s_cmp_gt_i32 s18, 6
	s_cbranch_scc0 .LBB8_916
; %bb.914:
	global_load_dwordx2 v[2:3], v[0:1], off
	s_mov_b64 s[18:19], 0
	s_branch .LBB8_917
.LBB8_915:
	s_mov_b64 s[18:19], -1
                                        ; implicit-def: $vgpr2_vgpr3
	s_branch .LBB8_920
.LBB8_916:
	s_mov_b64 s[18:19], -1
                                        ; implicit-def: $vgpr2_vgpr3
.LBB8_917:
	s_andn2_b64 vcc, exec, s[18:19]
	s_cbranch_vccnz .LBB8_919
; %bb.918:
	global_load_dword v2, v[0:1], off
	s_waitcnt vmcnt(0)
	v_cvt_f64_f32_e32 v[2:3], v2
.LBB8_919:
	s_mov_b64 s[18:19], 0
.LBB8_920:
	s_andn2_b64 vcc, exec, s[18:19]
	s_cbranch_vccnz .LBB8_922
; %bb.921:
	global_load_ushort v2, v[0:1], off
	s_waitcnt vmcnt(0)
	v_cvt_f32_f16_e32 v2, v2
	v_cvt_f64_f32_e32 v[2:3], v2
.LBB8_922:
	s_cbranch_execnz .LBB8_941
.LBB8_923:
	s_sext_i32_i16 s18, s42
	s_cmp_lt_i32 s18, 2
	s_cbranch_scc1 .LBB8_927
; %bb.924:
	s_cmp_lt_i32 s18, 3
	s_cbranch_scc1 .LBB8_928
; %bb.925:
	s_cmp_gt_i32 s18, 3
	s_cbranch_scc0 .LBB8_929
; %bb.926:
	global_load_dwordx2 v[2:3], v[0:1], off
	s_mov_b64 s[18:19], 0
	s_waitcnt vmcnt(0)
	v_cvt_f64_i32_e32 v[4:5], v3
	v_cvt_f64_u32_e32 v[2:3], v2
	v_ldexp_f64 v[4:5], v[4:5], 32
	v_add_f64 v[2:3], v[4:5], v[2:3]
	s_branch .LBB8_930
.LBB8_927:
                                        ; implicit-def: $vgpr2_vgpr3
	s_branch .LBB8_936
.LBB8_928:
	s_mov_b64 s[18:19], -1
                                        ; implicit-def: $vgpr2_vgpr3
	s_branch .LBB8_933
.LBB8_929:
	s_mov_b64 s[18:19], -1
                                        ; implicit-def: $vgpr2_vgpr3
.LBB8_930:
	s_andn2_b64 vcc, exec, s[18:19]
	s_cbranch_vccnz .LBB8_932
; %bb.931:
	global_load_dword v2, v[0:1], off
	s_waitcnt vmcnt(0)
	v_cvt_f64_i32_e32 v[2:3], v2
.LBB8_932:
	s_mov_b64 s[18:19], 0
.LBB8_933:
	s_andn2_b64 vcc, exec, s[18:19]
	s_cbranch_vccnz .LBB8_935
; %bb.934:
	global_load_sshort v2, v[0:1], off
	s_waitcnt vmcnt(0)
	v_cvt_f64_i32_e32 v[2:3], v2
.LBB8_935:
	s_cbranch_execnz .LBB8_941
.LBB8_936:
	s_sext_i32_i16 s18, s42
	s_cmp_gt_i32 s18, 0
	s_cbranch_scc0 .LBB8_938
; %bb.937:
	global_load_sbyte v2, v[0:1], off
	s_mov_b64 s[18:19], 0
	s_waitcnt vmcnt(0)
	v_cvt_f64_i32_e32 v[2:3], v2
	s_branch .LBB8_939
.LBB8_938:
	s_mov_b64 s[18:19], -1
                                        ; implicit-def: $vgpr2_vgpr3
.LBB8_939:
	s_andn2_b64 vcc, exec, s[18:19]
	s_cbranch_vccnz .LBB8_941
; %bb.940:
	global_load_ubyte v0, v[0:1], off
	s_waitcnt vmcnt(0)
	v_cvt_f64_u32_e32 v[2:3], v0
.LBB8_941:
	s_or_b64 s[0:1], s[0:1], exec
.LBB8_942:
	s_or_b64 exec, exec, s[14:15]
	s_mov_b64 s[20:21], 0
	s_mov_b64 s[18:19], 0
                                        ; implicit-def: $sgpr26
                                        ; implicit-def: $vgpr4_vgpr5
                                        ; implicit-def: $vgpr0_vgpr1
	s_and_saveexec_b64 s[14:15], s[0:1]
	s_cbranch_execz .LBB8_1029
; %bb.943:
	s_mov_b32 s0, 0
	s_mov_b32 s1, 0x40200000
	s_waitcnt vmcnt(0)
	v_cmp_le_f64_e64 s[0:1], |v[2:3]|, s[0:1]
                                        ; implicit-def: $vgpr0_vgpr1
	s_and_saveexec_b64 s[18:19], s[0:1]
	s_xor_b64 s[0:1], exec, s[18:19]
	s_cbranch_execz .LBB8_949
; %bb.944:
	s_mov_b32 s18, 0xc3c4014
	v_fma_f64 v[0:1], |v[2:3]|, 0.5, -2.0
	v_mov_b32_e32 v4, 0xc38a0576
	v_mov_b32_e32 v5, 0xbc7857d0
	s_mov_b32 s19, 0x3c499f2a
	v_fmac_f64_e32 v[4:5], s[18:19], v[0:1]
	v_mov_b32_e32 v6, 0xc3c4014
	v_mov_b32_e32 v7, 0xbc499f2a
	s_mov_b32 s18, 0xe593bfac
	v_fmac_f64_e32 v[6:7], v[0:1], v[4:5]
	s_mov_b32 s19, 0x3ca663e3
	v_add_f64 v[6:7], v[6:7], s[18:19]
	s_mov_b32 s18, 0x7e0d1573
	v_fma_f64 v[4:5], v[0:1], v[6:7], -v[4:5]
	s_mov_b32 s19, 0xbcd3eaaa
	v_add_f64 v[4:5], v[4:5], s[18:19]
	s_mov_b32 s18, 0x615290c
	v_fma_f64 v[6:7], v[0:1], v[4:5], -v[6:7]
	;; [unrolled: 4-line block ×26, first 2 shown]
	s_mov_b32 s19, 0x3fd02a63
	v_add_f64 v[0:1], v[0:1], s[18:19]
	v_add_f64 v[0:1], v[0:1], -v[6:7]
	s_mov_b32 s18, 0x652b82fe
	v_mul_f64 v[0:1], v[0:1], 0.5
	s_mov_b32 s19, 0x3ff71547
	v_mul_f64 v[4:5], |v[2:3]|, v[0:1]
	v_mul_f64 v[0:1], |v[2:3]|, s[18:19]
	s_mov_b32 s18, 0xfefa39ef
	v_rndne_f64_e32 v[0:1], v[0:1]
	s_mov_b32 s19, 0xbfe62e42
	v_fma_f64 v[6:7], v[0:1], s[18:19], |v[2:3]|
	s_mov_b32 s18, 0x3b39803f
	s_mov_b32 s19, 0xbc7abc9e
	v_fmac_f64_e32 v[6:7], s[18:19], v[0:1]
	s_mov_b32 s18, 0x6a5dcb37
	v_mov_b32_e32 v8, 0xfca7ab0c
	v_mov_b32_e32 v9, 0x3e928af3
	s_mov_b32 s19, 0x3e5ade15
	v_fmac_f64_e32 v[8:9], s[18:19], v[6:7]
	v_mov_b32_e32 v10, 0x623fde64
	v_mov_b32_e32 v11, 0x3ec71dee
	v_fmac_f64_e32 v[10:11], v[6:7], v[8:9]
	v_mov_b32_e32 v8, 0x7c89e6b0
	v_mov_b32_e32 v9, 0x3efa0199
	;; [unrolled: 3-line block ×8, first 2 shown]
	v_fmac_f64_e32 v[8:9], v[6:7], v[10:11]
	v_fma_f64 v[8:9], v[6:7], v[8:9], 1.0
	v_cmp_ngt_f64_e32 vcc, 0, v[2:3]
	v_fma_f64 v[6:7], v[6:7], v[8:9], 1.0
	v_cvt_i32_f64_e32 v8, v[0:1]
                                        ; implicit-def: $vgpr0_vgpr1
	s_and_saveexec_b64 s[18:19], vcc
	s_xor_b64 s[18:19], exec, s[18:19]
; %bb.945:
	s_mov_b32 s20, 0
	s_mov_b32 s21, 0x40900000
	v_ldexp_f64 v[0:1], v[6:7], v8
	v_mov_b32_e32 v6, 0x7ff00000
	v_cmp_ngt_f64_e64 vcc, |v[2:3]|, s[20:21]
                                        ; implicit-def: $vgpr8
                                        ; implicit-def: $vgpr2_vgpr3
	s_nop 1
	v_cndmask_b32_e32 v1, v6, v1, vcc
	v_cndmask_b32_e32 v0, 0, v0, vcc
	v_mul_f64 v[0:1], v[0:1], v[4:5]
                                        ; implicit-def: $vgpr6_vgpr7
                                        ; implicit-def: $vgpr4_vgpr5
; %bb.946:
	s_andn2_saveexec_b64 s[18:19], s[18:19]
; %bb.947:
	s_mov_b32 s20, 0
	s_mov_b32 s21, 0x40900000
	v_ldexp_f64 v[0:1], -v[6:7], v8
	v_mov_b32_e32 v6, 0xfff00000
	v_cmp_ngt_f64_e64 vcc, |v[2:3]|, s[20:21]
	s_nop 1
	v_cndmask_b32_e32 v1, v6, v1, vcc
	v_cndmask_b32_e32 v0, 0, v0, vcc
	v_mul_f64 v[0:1], v[0:1], v[4:5]
; %bb.948:
	s_or_b64 exec, exec, s[18:19]
                                        ; implicit-def: $vgpr2_vgpr3
.LBB8_949:
	s_andn2_saveexec_b64 s[18:19], s[0:1]
	s_cbranch_execz .LBB8_955
; %bb.950:
	s_mov_b32 s0, 0
	v_and_b32_e32 v1, 0x7fffffff, v3
	v_mov_b32_e32 v0, v2
	s_mov_b32 s1, 0x40400000
	v_div_scale_f64 v[4:5], s[20:21], v[0:1], v[0:1], s[0:1]
	v_rcp_f64_e32 v[6:7], v[4:5]
	v_div_scale_f64 v[0:1], vcc, s[0:1], v[0:1], s[0:1]
	v_mov_b32_e32 v10, 0xfca7ab0c
	v_fma_f64 v[8:9], -v[4:5], v[6:7], 1.0
	v_fmac_f64_e32 v[6:7], v[6:7], v[8:9]
	v_fma_f64 v[8:9], -v[4:5], v[6:7], 1.0
	v_fmac_f64_e32 v[6:7], v[6:7], v[8:9]
	v_mul_f64 v[8:9], v[0:1], v[6:7]
	v_fma_f64 v[0:1], -v[4:5], v[8:9], v[0:1]
	v_div_fmas_f64 v[0:1], v[0:1], v[6:7], v[8:9]
	v_div_fixup_f64 v[0:1], v[0:1], |v[2:3]|, s[0:1]
	s_mov_b32 s0, 0xb352e8e6
	v_add_f64 v[0:1], v[0:1], -2.0
	v_mov_b32_e32 v4, 0xea87b950
	v_mov_b32_e32 v5, 0x3c545b8a
	s_mov_b32 s1, 0x3c61556d
	v_fmac_f64_e32 v[4:5], s[0:1], v[0:1]
	v_mov_b32_e32 v6, 0xb352e8e6
	v_mov_b32_e32 v7, 0xbc61556d
	s_mov_b32 s0, 0xb2532277
	v_fmac_f64_e32 v[6:7], v[0:1], v[4:5]
	s_mov_b32 s1, 0xbc8acea3
	v_add_f64 v[6:7], v[6:7], s[0:1]
	s_mov_b32 s0, 0x9c773320
	v_fma_f64 v[4:5], v[0:1], v[6:7], -v[4:5]
	s_mov_b32 s1, 0xbc82806c
	v_add_f64 v[4:5], v[4:5], s[0:1]
	s_mov_b32 s0, 0xfceb588a
	v_fma_f64 v[6:7], v[0:1], v[4:5], -v[6:7]
	s_mov_b32 s1, 0x3cb55915
	v_add_f64 v[6:7], v[6:7], s[0:1]
	s_mov_b32 s0, 0x5f04a2d1
	v_fma_f64 v[4:5], v[0:1], v[6:7], -v[4:5]
	s_mov_b32 s1, 0x3cb7d68e
	v_add_f64 v[4:5], v[4:5], s[0:1]
	s_mov_b32 s0, 0x8bc4d22a
	v_fma_f64 v[6:7], v[0:1], v[4:5], -v[6:7]
	s_mov_b32 s1, 0xbce0efcd
	v_add_f64 v[6:7], v[6:7], s[0:1]
	s_mov_b32 s0, 0x138afbc7
	v_fma_f64 v[4:5], v[0:1], v[6:7], -v[4:5]
	s_mov_b32 s1, 0xbcf12db5
	v_add_f64 v[4:5], v[4:5], s[0:1]
	s_mov_b32 s0, 0x762d31e8
	v_fma_f64 v[6:7], v[0:1], v[4:5], -v[6:7]
	s_mov_b32 s1, 0x3d0776e1
	v_add_f64 v[6:7], v[6:7], s[0:1]
	s_mov_b32 s0, 0x26b3281e
	v_fma_f64 v[4:5], v[0:1], v[6:7], -v[4:5]
	s_mov_b32 s1, 0x3d280d3c
	v_add_f64 v[4:5], v[4:5], s[0:1]
	s_mov_b32 s0, 0x2e6d22a0
	v_fma_f64 v[6:7], v[0:1], v[4:5], -v[6:7]
	s_mov_b32 s1, 0xbd17a948
	v_add_f64 v[6:7], v[6:7], s[0:1]
	s_mov_b32 s0, 0x8e73e255
	v_fma_f64 v[4:5], v[0:1], v[6:7], -v[4:5]
	s_mov_b32 s1, 0xbd5cbc45
	v_add_f64 v[4:5], v[4:5], s[0:1]
	s_mov_b32 s0, 0x76ab493
	v_fma_f64 v[6:7], v[0:1], v[4:5], -v[6:7]
	s_mov_b32 s1, 0xbd6953e1
	v_add_f64 v[6:7], v[6:7], s[0:1]
	s_mov_b32 s0, 0xf6439fa3
	v_fma_f64 v[4:5], v[0:1], v[6:7], -v[4:5]
	s_mov_b32 s1, 0x3d81e7d3
	v_add_f64 v[4:5], v[4:5], s[0:1]
	s_mov_b32 s0, 0x653c457b
	v_fma_f64 v[6:7], v[0:1], v[4:5], -v[6:7]
	s_mov_b32 s1, 0x3daf101f
	v_add_f64 v[6:7], v[6:7], s[0:1]
	s_mov_b32 s0, 0xf1587865
	v_fma_f64 v[4:5], v[0:1], v[6:7], -v[4:5]
	s_mov_b32 s1, 0x3dc1e1a1
	v_add_f64 v[4:5], v[4:5], s[0:1]
	s_mov_b32 s0, 0xd4504c0c
	v_fma_f64 v[6:7], v[0:1], v[4:5], -v[6:7]
	s_mov_b32 s1, 0xbdb4dcf9
	v_add_f64 v[6:7], v[6:7], s[0:1]
	s_mov_b32 s0, 0x5423dd80
	v_fma_f64 v[4:5], v[0:1], v[6:7], -v[4:5]
	s_mov_b32 s1, 0xbe0334ca
	v_add_f64 v[4:5], v[4:5], s[0:1]
	s_mov_b32 s0, 0x9ad53528
	v_fma_f64 v[6:7], v[0:1], v[4:5], -v[6:7]
	s_mov_b32 s1, 0xbe30790b
	v_add_f64 v[6:7], v[6:7], s[0:1]
	s_mov_b32 s0, 0x94bb46c1
	v_fma_f64 v[4:5], v[0:1], v[6:7], -v[4:5]
	s_mov_b32 s1, 0xbe5c4153
	v_add_f64 v[4:5], v[4:5], s[0:1]
	s_mov_b32 s0, 0x2e9e5443
	v_fma_f64 v[6:7], v[0:1], v[4:5], -v[6:7]
	s_mov_b32 s1, 0xbe90dbfd
	v_add_f64 v[6:7], v[6:7], s[0:1]
	s_mov_b32 s0, 0x49ca0373
	v_fma_f64 v[4:5], v[0:1], v[6:7], -v[4:5]
	s_mov_b32 s1, 0xbed048df
	v_add_f64 v[4:5], v[4:5], s[0:1]
	s_mov_b32 s0, 0x804aa9a6
	v_fma_f64 v[6:7], v[0:1], v[4:5], -v[6:7]
	s_mov_b32 s1, 0xbf1cfd7f
	v_add_f64 v[6:7], v[6:7], s[0:1]
	s_mov_b32 s0, 0x53fcdb4c
	v_fma_f64 v[4:5], v[0:1], v[6:7], -v[4:5]
	s_mov_b32 s1, 0xbf83fda0
	v_add_f64 v[4:5], v[4:5], s[0:1]
	s_mov_b32 s0, 0xb55b1514
	v_fma_f64 v[0:1], v[0:1], v[4:5], -v[6:7]
	s_mov_b32 s1, 0x3fe8ea18
	v_add_f64 v[0:1], v[0:1], s[0:1]
	s_mov_b32 s0, 0x652b82fe
	s_mov_b32 s1, 0x3ff71547
	v_mul_f64 v[4:5], |v[2:3]|, s[0:1]
	s_mov_b32 s0, 0xfefa39ef
	v_rndne_f64_e32 v[4:5], v[4:5]
	s_mov_b32 s1, 0xbfe62e42
	v_fma_f64 v[8:9], v[4:5], s[0:1], |v[2:3]|
	s_mov_b32 s0, 0x3b39803f
	s_mov_b32 s1, 0xbc7abc9e
	v_fmac_f64_e32 v[8:9], s[0:1], v[4:5]
	s_mov_b32 s0, 0x6a5dcb37
	v_mov_b32_e32 v11, 0x3e928af3
	s_mov_b32 s1, 0x3e5ade15
	v_fmac_f64_e32 v[10:11], s[0:1], v[8:9]
	v_mov_b32_e32 v12, 0x623fde64
	v_mov_b32_e32 v13, 0x3ec71dee
	v_fmac_f64_e32 v[12:13], v[8:9], v[10:11]
	v_mov_b32_e32 v10, 0x7c89e6b0
	v_mov_b32_e32 v11, 0x3efa0199
	;; [unrolled: 3-line block ×8, first 2 shown]
	v_fmac_f64_e32 v[10:11], v[8:9], v[12:13]
	v_fma_f64 v[10:11], v[8:9], v[10:11], 1.0
	s_mov_b32 s0, 0
	v_fma_f64 v[8:9], v[8:9], v[10:11], 1.0
	v_cvt_i32_f64_e32 v4, v[4:5]
	s_mov_b32 s1, 0x40900000
	v_ldexp_f64 v[4:5], v[8:9], v4
	v_mov_b32_e32 v8, 0x7ff00000
	v_cmp_ngt_f64_e64 s[0:1], |v[2:3]|, s[0:1]
	v_cmp_ngt_f64_e32 vcc, 0, v[2:3]
	v_add_f64 v[6:7], v[0:1], -v[6:7]
	v_cndmask_b32_e64 v5, v8, v5, s[0:1]
	v_cndmask_b32_e64 v4, 0, v4, s[0:1]
                                        ; implicit-def: $vgpr0_vgpr1
	s_and_saveexec_b64 s[0:1], vcc
	s_xor_b64 s[0:1], exec, s[0:1]
	s_cbranch_execz .LBB8_952
; %bb.951:
	s_mov_b32 s20, 0
	s_brev_b32 s21, 8
	v_mov_b32_e32 v0, 0x100
	v_cmp_lt_f64_e64 vcc, |v[2:3]|, s[20:21]
	v_mul_f64 v[6:7], v[6:7], 0.5
	v_mul_f64 v[4:5], v[4:5], v[6:7]
	v_cndmask_b32_e32 v0, 0, v0, vcc
	v_ldexp_f64 v[0:1], |v[2:3]|, v0
	v_rsq_f64_e32 v[2:3], v[0:1]
	s_nop 0
	v_mul_f64 v[6:7], v[0:1], v[2:3]
	v_mul_f64 v[2:3], v[2:3], 0.5
	v_fma_f64 v[8:9], -v[2:3], v[6:7], 0.5
	v_fmac_f64_e32 v[6:7], v[6:7], v[8:9]
	v_fma_f64 v[10:11], -v[6:7], v[6:7], v[0:1]
	v_fmac_f64_e32 v[2:3], v[2:3], v[8:9]
	v_fmac_f64_e32 v[6:7], v[10:11], v[2:3]
	v_fma_f64 v[8:9], -v[6:7], v[6:7], v[0:1]
	v_fmac_f64_e32 v[6:7], v[8:9], v[2:3]
	v_mov_b32_e32 v2, 0xffffff80
	v_cndmask_b32_e32 v2, 0, v2, vcc
	v_ldexp_f64 v[2:3], v[6:7], v2
	v_mov_b32_e32 v6, 0x260
	v_cmp_class_f64_e32 vcc, v[0:1], v6
	s_nop 1
	v_cndmask_b32_e32 v1, v3, v1, vcc
	v_cndmask_b32_e32 v0, v2, v0, vcc
	v_div_scale_f64 v[2:3], s[20:21], v[0:1], v[0:1], v[4:5]
	v_rcp_f64_e32 v[6:7], v[2:3]
	s_nop 0
	v_fma_f64 v[8:9], -v[2:3], v[6:7], 1.0
	v_fmac_f64_e32 v[6:7], v[6:7], v[8:9]
	v_fma_f64 v[8:9], -v[2:3], v[6:7], 1.0
	v_fmac_f64_e32 v[6:7], v[6:7], v[8:9]
	v_div_scale_f64 v[8:9], vcc, v[4:5], v[0:1], v[4:5]
	v_mul_f64 v[10:11], v[8:9], v[6:7]
	v_fma_f64 v[2:3], -v[2:3], v[10:11], v[8:9]
	s_nop 1
	v_div_fmas_f64 v[2:3], v[2:3], v[6:7], v[10:11]
	v_div_fixup_f64 v[0:1], v[2:3], v[0:1], v[4:5]
                                        ; implicit-def: $vgpr2_vgpr3
                                        ; implicit-def: $vgpr6_vgpr7
                                        ; implicit-def: $vgpr4_vgpr5
.LBB8_952:
	s_andn2_saveexec_b64 s[0:1], s[0:1]
	s_cbranch_execz .LBB8_954
; %bb.953:
	s_mov_b32 s20, 0
	s_brev_b32 s21, 8
	v_mov_b32_e32 v0, 0x100
	v_cmp_lt_f64_e64 vcc, |v[2:3]|, s[20:21]
	s_nop 1
	v_cndmask_b32_e32 v0, 0, v0, vcc
	v_ldexp_f64 v[0:1], |v[2:3]|, v0
	v_rsq_f64_e32 v[2:3], v[0:1]
	s_nop 0
	v_mul_f64 v[8:9], v[0:1], v[2:3]
	v_mul_f64 v[2:3], v[2:3], 0.5
	v_fma_f64 v[10:11], -v[2:3], v[8:9], 0.5
	v_fmac_f64_e32 v[8:9], v[8:9], v[10:11]
	v_fma_f64 v[12:13], -v[8:9], v[8:9], v[0:1]
	v_fmac_f64_e32 v[2:3], v[2:3], v[10:11]
	v_fmac_f64_e32 v[8:9], v[12:13], v[2:3]
	v_fma_f64 v[10:11], -v[8:9], v[8:9], v[0:1]
	v_fmac_f64_e32 v[8:9], v[10:11], v[2:3]
	v_mov_b32_e32 v2, 0xffffff80
	v_cndmask_b32_e32 v2, 0, v2, vcc
	v_ldexp_f64 v[2:3], v[8:9], v2
	v_mov_b32_e32 v8, 0x260
	v_cmp_class_f64_e32 vcc, v[0:1], v8
	s_nop 1
	v_cndmask_b32_e32 v1, v3, v1, vcc
	v_cndmask_b32_e32 v0, v2, v0, vcc
	v_mul_f64 v[2:3], v[6:7], -0.5
	v_mul_f64 v[2:3], v[4:5], v[2:3]
	v_div_scale_f64 v[4:5], s[20:21], v[0:1], v[0:1], v[2:3]
	v_rcp_f64_e32 v[6:7], v[4:5]
	s_nop 0
	v_fma_f64 v[8:9], -v[4:5], v[6:7], 1.0
	v_fmac_f64_e32 v[6:7], v[6:7], v[8:9]
	v_fma_f64 v[8:9], -v[4:5], v[6:7], 1.0
	v_fmac_f64_e32 v[6:7], v[6:7], v[8:9]
	v_div_scale_f64 v[8:9], vcc, v[2:3], v[0:1], v[2:3]
	v_mul_f64 v[10:11], v[8:9], v[6:7]
	v_fma_f64 v[4:5], -v[4:5], v[10:11], v[8:9]
	s_nop 1
	v_div_fmas_f64 v[4:5], v[4:5], v[6:7], v[10:11]
	v_div_fixup_f64 v[0:1], v[4:5], v[0:1], v[2:3]
.LBB8_954:
	s_or_b64 exec, exec, s[0:1]
.LBB8_955:
	s_or_b64 exec, exec, s[18:19]
	v_mul_lo_u32 v2, v14, s8
	v_ashrrev_i32_e32 v3, 31, v2
	s_and_b32 s26, s33, 0xff
	s_cmp_lt_i32 s26, 11
	v_lshl_add_u64 v[4:5], s[4:5], 0, v[2:3]
	s_cbranch_scc1 .LBB8_1032
; %bb.956:
	s_and_b32 s27, 0xffff, s26
	s_mov_b64 s[20:21], -1
	s_cmp_gt_i32 s27, 25
	s_mov_b64 s[0:1], s[12:13]
	s_cbranch_scc0 .LBB8_989
; %bb.957:
	s_mov_b64 s[18:19], -1
	s_cmp_gt_i32 s27, 28
	s_mov_b64 s[0:1], s[12:13]
	s_cbranch_scc0 .LBB8_973
; %bb.958:
	s_cmp_gt_i32 s27, 43
	s_mov_b64 s[0:1], s[12:13]
	s_cbranch_scc0 .LBB8_969
; %bb.959:
	;; [unrolled: 4-line block ×3, first 2 shown]
	s_cmp_eq_u32 s27, 46
	s_mov_b64 s[0:1], -1
	s_cbranch_scc0 .LBB8_962
; %bb.961:
	v_cvt_f32_f64_e32 v2, v[0:1]
	v_bfe_u32 v3, v2, 16, 1
	s_movk_i32 s0, 0x7fff
	v_add3_u32 v3, v2, v3, s0
	v_cmp_o_f32_e32 vcc, v2, v2
	v_mov_b32_e32 v2, 0x7fc0
	s_mov_b64 s[0:1], 0
	v_cndmask_b32_sdwa v2, v2, v3, vcc dst_sel:DWORD dst_unused:UNUSED_PAD src0_sel:DWORD src1_sel:WORD_1
	global_store_dword v[4:5], v2, off
.LBB8_962:
	s_mov_b64 s[18:19], 0
.LBB8_963:
	s_and_b64 vcc, exec, s[18:19]
	s_cbranch_vccz .LBB8_968
; %bb.964:
	s_cmp_eq_u32 s27, 44
	s_mov_b64 s[0:1], -1
	s_cbranch_scc0 .LBB8_968
; %bb.965:
	v_cvt_f32_f64_e32 v2, v[0:1]
	v_bfe_u32 v3, v2, 23, 8
	s_movk_i32 s0, 0xff
	v_cmp_ne_u32_e32 vcc, s0, v3
	v_mov_b32_e32 v6, 0xff
	s_and_saveexec_b64 s[18:19], vcc
; %bb.966:
	s_mov_b32 s0, 0x3fffff
	v_lshrrev_b32_e32 v6, 23, v2
	v_and_b32_e32 v7, 0x400000, v2
	v_and_or_b32 v2, v2, s0, v3
	v_cmp_ne_u32_e32 vcc, 0, v7
	v_cmp_ne_u32_e64 s[0:1], 0, v2
	s_and_b64 s[0:1], vcc, s[0:1]
	s_nop 0
	v_cndmask_b32_e64 v2, 0, 1, s[0:1]
	v_add_u32_e32 v6, v6, v2
; %bb.967:
	s_or_b64 exec, exec, s[18:19]
	s_mov_b64 s[0:1], 0
	global_store_byte v[4:5], v6, off
.LBB8_968:
	s_mov_b64 s[18:19], 0
.LBB8_969:
	s_and_b64 vcc, exec, s[18:19]
	s_cbranch_vccz .LBB8_972
; %bb.970:
	s_cmp_eq_u32 s27, 29
	s_mov_b64 s[0:1], -1
	s_cbranch_scc0 .LBB8_972
; %bb.971:
	v_trunc_f64_e32 v[2:3], v[0:1]
	s_movk_i32 s0, 0xffe0
	v_ldexp_f64 v[6:7], v[2:3], s0
	v_floor_f64_e32 v[6:7], v[6:7]
	v_fmac_f64_e32 v[2:3], 0xc1f00000, v[6:7]
	v_cvt_u32_f64_e32 v9, v[6:7]
	v_cvt_u32_f64_e32 v8, v[2:3]
	global_store_dwordx2 v[4:5], v[8:9], off
	s_mov_b64 s[0:1], 0
.LBB8_972:
	s_mov_b64 s[18:19], 0
.LBB8_973:
	s_and_b64 vcc, exec, s[18:19]
	s_cbranch_vccz .LBB8_988
; %bb.974:
	s_cmp_lt_i32 s27, 27
	s_mov_b64 s[18:19], -1
	s_cbranch_scc1 .LBB8_980
; %bb.975:
	s_cmp_gt_i32 s27, 27
	v_cvt_u32_f64_e32 v2, v[0:1]
	s_cbranch_scc0 .LBB8_977
; %bb.976:
	s_mov_b64 s[18:19], 0
	global_store_dword v[4:5], v2, off
.LBB8_977:
	s_andn2_b64 vcc, exec, s[18:19]
	s_cbranch_vccnz .LBB8_979
; %bb.978:
	global_store_short v[4:5], v2, off
.LBB8_979:
	s_mov_b64 s[18:19], 0
.LBB8_980:
	s_andn2_b64 vcc, exec, s[18:19]
	s_cbranch_vccnz .LBB8_988
; %bb.981:
	v_cvt_f32_f64_e32 v2, v[0:1]
	v_and_b32_e32 v3, 0x7fffffff, v2
	s_mov_b32 s18, 0x43800000
	v_cmp_gt_u32_e32 vcc, s18, v3
	v_mov_b32_e32 v6, 0x80
	s_and_saveexec_b64 s[18:19], vcc
	s_cbranch_execz .LBB8_987
; %bb.982:
	s_mov_b32 s20, 0x3bffffff
	v_cmp_lt_u32_e32 vcc, s20, v3
	s_mov_b64 s[20:21], 0
                                        ; implicit-def: $vgpr3
	s_and_saveexec_b64 s[22:23], vcc
	s_xor_b64 s[22:23], exec, s[22:23]
	s_cbranch_execz .LBB8_1089
; %bb.983:
	v_bfe_u32 v3, v2, 20, 1
	s_mov_b32 s24, 0x487ffff
	v_add3_u32 v3, v2, v3, s24
	s_mov_b64 s[20:21], exec
	v_lshrrev_b32_e32 v3, 20, v3
	s_andn2_saveexec_b64 s[22:23], s[22:23]
	s_cbranch_execnz .LBB8_1090
.LBB8_984:
	s_or_b64 exec, exec, s[22:23]
	v_mov_b32_e32 v6, 0
	s_and_saveexec_b64 s[22:23], s[20:21]
.LBB8_985:
	v_lshrrev_b32_e32 v2, 24, v2
	s_movk_i32 s20, 0x80
	v_and_or_b32 v6, v2, s20, v3
.LBB8_986:
	s_or_b64 exec, exec, s[22:23]
.LBB8_987:
	s_or_b64 exec, exec, s[18:19]
	global_store_byte v[4:5], v6, off
.LBB8_988:
	s_mov_b64 s[20:21], 0
.LBB8_989:
	s_mov_b64 s[18:19], 0
	s_and_b64 vcc, exec, s[20:21]
	s_cbranch_vccz .LBB8_1033
; %bb.990:
	s_cmp_gt_i32 s27, 22
	s_mov_b64 s[20:21], -1
	s_cbranch_scc0 .LBB8_1022
; %bb.991:
	s_cmp_lt_i32 s27, 24
	s_cbranch_scc1 .LBB8_1011
; %bb.992:
	s_cmp_gt_i32 s27, 24
	s_cbranch_scc0 .LBB8_1000
; %bb.993:
	v_cvt_f32_f64_e32 v2, v[0:1]
	v_and_b32_e32 v3, 0x7fffffff, v2
	s_mov_b32 s20, 0x47800000
	v_cmp_gt_u32_e32 vcc, s20, v3
	v_mov_b32_e32 v6, 0x80
	s_and_saveexec_b64 s[20:21], vcc
	s_cbranch_execz .LBB8_999
; %bb.994:
	s_mov_b32 s22, 0x37ffffff
	v_cmp_lt_u32_e32 vcc, s22, v3
	s_mov_b64 s[22:23], 0
                                        ; implicit-def: $vgpr3
	s_and_saveexec_b64 s[24:25], vcc
	s_xor_b64 s[24:25], exec, s[24:25]
	s_cbranch_execz .LBB8_1226
; %bb.995:
	v_bfe_u32 v3, v2, 21, 1
	s_mov_b32 s28, 0x88fffff
	v_add3_u32 v3, v2, v3, s28
	s_mov_b64 s[22:23], exec
	v_lshrrev_b32_e32 v3, 21, v3
	s_andn2_saveexec_b64 s[24:25], s[24:25]
	s_cbranch_execnz .LBB8_1227
.LBB8_996:
	s_or_b64 exec, exec, s[24:25]
	v_mov_b32_e32 v6, 0
	s_and_saveexec_b64 s[24:25], s[22:23]
.LBB8_997:
	v_lshrrev_b32_e32 v2, 24, v2
	s_movk_i32 s22, 0x80
	v_and_or_b32 v6, v2, s22, v3
.LBB8_998:
	s_or_b64 exec, exec, s[24:25]
.LBB8_999:
	s_or_b64 exec, exec, s[20:21]
	s_mov_b64 s[20:21], 0
	global_store_byte v[4:5], v6, off
.LBB8_1000:
	s_and_b64 vcc, exec, s[20:21]
	s_cbranch_vccz .LBB8_1010
; %bb.1001:
	v_cvt_f32_f64_e32 v2, v[0:1]
	v_and_b32_e32 v6, 0x7fffffff, v2
	s_mov_b32 s20, 0x43f00000
	v_cmp_gt_u32_e32 vcc, s20, v6
                                        ; implicit-def: $vgpr3
	s_and_saveexec_b64 s[20:21], vcc
	s_xor_b64 s[20:21], exec, s[20:21]
	s_cbranch_execz .LBB8_1007
; %bb.1002:
	s_mov_b32 s22, 0x3c7fffff
	v_cmp_lt_u32_e32 vcc, s22, v6
                                        ; implicit-def: $vgpr3
	s_and_saveexec_b64 s[22:23], vcc
	s_xor_b64 s[22:23], exec, s[22:23]
; %bb.1003:
	v_bfe_u32 v3, v2, 20, 1
	s_mov_b32 s24, 0x407ffff
	v_add3_u32 v3, v2, v3, s24
	v_lshrrev_b32_e32 v6, 20, v3
	v_and_b32_e32 v3, 0xff00000, v3
	s_mov_b32 s24, 0x7f00000
	v_mov_b32_e32 v7, 0x7e
	v_cmp_ne_u32_e32 vcc, s24, v3
	s_nop 1
	v_cndmask_b32_e32 v3, v7, v6, vcc
; %bb.1004:
	s_andn2_saveexec_b64 s[22:23], s[22:23]
; %bb.1005:
	s_mov_b32 s24, 0x46800000
	v_add_f32_e64 v3, |v2|, s24
; %bb.1006:
	s_or_b64 exec, exec, s[22:23]
                                        ; implicit-def: $vgpr6
.LBB8_1007:
	s_andn2_saveexec_b64 s[20:21], s[20:21]
; %bb.1008:
	s_mov_b32 s22, 0x7f800000
	v_mov_b32_e32 v3, 0x7e
	v_mov_b32_e32 v7, 0x7f
	v_cmp_lt_u32_e32 vcc, s22, v6
	s_nop 1
	v_cndmask_b32_e32 v3, v3, v7, vcc
; %bb.1009:
	s_or_b64 exec, exec, s[20:21]
	v_lshrrev_b32_e32 v2, 24, v2
	s_movk_i32 s20, 0x80
	v_and_or_b32 v2, v2, s20, v3
	global_store_byte v[4:5], v2, off
.LBB8_1010:
	s_mov_b64 s[20:21], 0
.LBB8_1011:
	s_andn2_b64 vcc, exec, s[20:21]
	s_cbranch_vccnz .LBB8_1021
; %bb.1012:
	v_cvt_f32_f64_e32 v2, v[0:1]
	v_and_b32_e32 v6, 0x7fffffff, v2
	s_mov_b32 s20, 0x47800000
	v_cmp_gt_u32_e32 vcc, s20, v6
                                        ; implicit-def: $vgpr3
	s_and_saveexec_b64 s[20:21], vcc
	s_xor_b64 s[20:21], exec, s[20:21]
	s_cbranch_execz .LBB8_1018
; %bb.1013:
	s_mov_b32 s22, 0x387fffff
	v_cmp_lt_u32_e32 vcc, s22, v6
                                        ; implicit-def: $vgpr3
	s_and_saveexec_b64 s[22:23], vcc
	s_xor_b64 s[22:23], exec, s[22:23]
; %bb.1014:
	v_bfe_u32 v3, v2, 21, 1
	s_mov_b32 s24, 0x80fffff
	v_add3_u32 v3, v2, v3, s24
	v_lshrrev_b32_e32 v3, 21, v3
; %bb.1015:
	s_andn2_saveexec_b64 s[22:23], s[22:23]
; %bb.1016:
	s_mov_b32 s24, 0x43000000
	v_add_f32_e64 v3, |v2|, s24
; %bb.1017:
	s_or_b64 exec, exec, s[22:23]
                                        ; implicit-def: $vgpr6
.LBB8_1018:
	s_andn2_saveexec_b64 s[20:21], s[20:21]
; %bb.1019:
	s_mov_b32 s22, 0x7f800000
	v_mov_b32_e32 v3, 0x7c
	v_mov_b32_e32 v7, 0x7f
	v_cmp_lt_u32_e32 vcc, s22, v6
	s_nop 1
	v_cndmask_b32_e32 v3, v3, v7, vcc
; %bb.1020:
	s_or_b64 exec, exec, s[20:21]
	v_lshrrev_b32_e32 v2, 24, v2
	s_movk_i32 s20, 0x80
	v_and_or_b32 v2, v2, s20, v3
	global_store_byte v[4:5], v2, off
.LBB8_1021:
	s_mov_b64 s[20:21], 0
.LBB8_1022:
	s_andn2_b64 vcc, exec, s[20:21]
	s_mov_b64 s[20:21], 0
	s_cbranch_vccnz .LBB8_1034
; %bb.1023:
	s_cmp_gt_i32 s27, 14
	s_mov_b64 s[22:23], -1
	s_cbranch_scc0 .LBB8_1027
; %bb.1024:
	s_cmp_eq_u32 s27, 15
	s_mov_b64 s[0:1], -1
	s_cbranch_scc0 .LBB8_1026
; %bb.1025:
	v_cvt_f32_f64_e32 v2, v[0:1]
	v_bfe_u32 v3, v2, 16, 1
	s_movk_i32 s0, 0x7fff
	v_add3_u32 v3, v2, v3, s0
	v_cmp_o_f32_e32 vcc, v2, v2
	v_mov_b32_e32 v2, 0x7fc0
	s_mov_b64 s[0:1], 0
	v_cndmask_b32_sdwa v2, v2, v3, vcc dst_sel:DWORD dst_unused:UNUSED_PAD src0_sel:DWORD src1_sel:WORD_1
	global_store_short v[4:5], v2, off
.LBB8_1026:
	s_mov_b64 s[22:23], 0
.LBB8_1027:
	s_and_b64 vcc, exec, s[22:23]
	s_cbranch_vccz .LBB8_1034
; %bb.1028:
	s_cmp_lg_u32 s27, 11
	s_cselect_b64 s[22:23], -1, 0
	s_andn2_b64 s[0:1], s[0:1], exec
	s_and_b64 s[22:23], s[22:23], exec
	s_mov_b64 s[20:21], -1
	s_or_b64 s[0:1], s[0:1], s[22:23]
	s_branch .LBB8_1034
.LBB8_1029:
	s_or_b64 exec, exec, s[14:15]
	s_and_saveexec_b64 s[0:1], s[12:13]
	s_cbranch_execnz .LBB8_1035
.LBB8_1030:
	s_or_b64 exec, exec, s[0:1]
	s_and_saveexec_b64 s[0:1], s[20:21]
	s_xor_b64 s[0:1], exec, s[0:1]
	s_cbranch_execz .LBB8_1036
.LBB8_1031:
	v_cmp_neq_f64_e32 vcc, 0, v[0:1]
	s_waitcnt vmcnt(0)
	s_nop 0
	v_cndmask_b32_e64 v2, 0, 1, vcc
	global_store_byte v[4:5], v2, off
	s_or_b64 exec, exec, s[0:1]
	s_and_saveexec_b64 s[0:1], s[18:19]
	s_xor_b64 s[0:1], exec, s[0:1]
	s_cbranch_execz .LBB8_1074
	s_branch .LBB8_1037
.LBB8_1032:
	s_mov_b64 s[20:21], 0
	s_mov_b64 s[18:19], -1
	s_mov_b64 s[0:1], s[12:13]
	s_branch .LBB8_1034
.LBB8_1033:
	s_mov_b64 s[20:21], 0
.LBB8_1034:
	s_andn2_b64 s[12:13], s[12:13], exec
	s_and_b64 s[0:1], s[0:1], exec
	s_and_b64 s[18:19], s[18:19], exec
	;; [unrolled: 1-line block ×3, first 2 shown]
	s_or_b64 s[12:13], s[12:13], s[0:1]
	s_or_b64 exec, exec, s[14:15]
	s_and_saveexec_b64 s[0:1], s[12:13]
	s_cbranch_execz .LBB8_1030
.LBB8_1035:
	s_or_b64 s[16:17], s[16:17], exec
	s_andn2_b64 s[20:21], s[20:21], exec
	s_trap 2
	s_or_b64 exec, exec, s[0:1]
	s_and_saveexec_b64 s[0:1], s[20:21]
	s_xor_b64 s[0:1], exec, s[0:1]
	s_cbranch_execnz .LBB8_1031
.LBB8_1036:
	s_or_b64 exec, exec, s[0:1]
	s_and_saveexec_b64 s[0:1], s[18:19]
	s_xor_b64 s[0:1], exec, s[0:1]
	s_cbranch_execz .LBB8_1074
.LBB8_1037:
	s_sext_i32_i16 s14, s26
	s_cmp_lt_i32 s14, 5
	s_mov_b64 s[12:13], -1
	s_cbranch_scc1 .LBB8_1058
; %bb.1038:
	s_cmp_lt_i32 s14, 8
	s_cbranch_scc1 .LBB8_1048
; %bb.1039:
	s_cmp_lt_i32 s14, 9
	s_cbranch_scc1 .LBB8_1045
; %bb.1040:
	s_cmp_gt_i32 s14, 9
	s_cbranch_scc0 .LBB8_1042
; %bb.1041:
	s_waitcnt vmcnt(0)
	v_mov_b32_e32 v2, 0
	v_mov_b32_e32 v3, v2
	s_mov_b64 s[12:13], 0
	global_store_dwordx4 v[4:5], v[0:3], off
.LBB8_1042:
	s_andn2_b64 vcc, exec, s[12:13]
	s_cbranch_vccnz .LBB8_1044
; %bb.1043:
	s_waitcnt vmcnt(0)
	v_cvt_f32_f64_e32 v2, v[0:1]
	v_mov_b32_e32 v3, 0
	global_store_dwordx2 v[4:5], v[2:3], off
.LBB8_1044:
	s_mov_b64 s[12:13], 0
.LBB8_1045:
	s_andn2_b64 vcc, exec, s[12:13]
	s_cbranch_vccnz .LBB8_1047
; %bb.1046:
	s_movk_i32 s12, 0x1ff
	s_waitcnt vmcnt(0)
	v_and_or_b32 v2, v1, s12, v0
	v_cmp_ne_u32_e32 vcc, 0, v2
	v_lshrrev_b32_e32 v3, 8, v1
	s_movk_i32 s12, 0xffe
	v_cndmask_b32_e64 v2, 0, 1, vcc
	v_bfe_u32 v6, v1, 20, 11
	v_and_or_b32 v2, v3, s12, v2
	v_sub_u32_e32 v7, 0x3f1, v6
	v_or_b32_e32 v3, 0x1000, v2
	v_med3_i32 v7, v7, 0, 13
	v_lshrrev_b32_e32 v8, v7, v3
	v_lshlrev_b32_e32 v7, v7, v8
	v_cmp_ne_u32_e32 vcc, v7, v3
	v_add_u32_e32 v6, 0xfffffc10, v6
	v_lshl_or_b32 v7, v6, 12, v2
	v_cndmask_b32_e64 v3, 0, 1, vcc
	v_or_b32_e32 v3, v8, v3
	v_cmp_gt_i32_e32 vcc, 1, v6
	s_movk_i32 s12, 0x40f
	s_nop 0
	v_cndmask_b32_e32 v3, v7, v3, vcc
	v_and_b32_e32 v7, 7, v3
	v_cmp_lt_i32_e32 vcc, 5, v7
	v_lshrrev_b32_e32 v3, 2, v3
	s_nop 0
	v_cndmask_b32_e64 v8, 0, 1, vcc
	v_cmp_eq_u32_e32 vcc, 3, v7
	s_nop 1
	v_cndmask_b32_e64 v7, 0, 1, vcc
	v_or_b32_e32 v7, v7, v8
	v_add_u32_e32 v3, v3, v7
	v_mov_b32_e32 v7, 0x7c00
	v_cmp_gt_i32_e32 vcc, 31, v6
	v_mov_b32_e32 v8, 0x7e00
	s_nop 0
	v_cndmask_b32_e32 v3, v7, v3, vcc
	v_cmp_ne_u32_e32 vcc, 0, v2
	s_nop 1
	v_cndmask_b32_e32 v2, v7, v8, vcc
	v_cmp_eq_u32_e32 vcc, s12, v6
	s_mov_b32 s12, 0x8000
	s_nop 0
	v_cndmask_b32_e32 v2, v3, v2, vcc
	v_and_b32_sdwa v3, v1, s12 dst_sel:DWORD dst_unused:UNUSED_PAD src0_sel:WORD_1 src1_sel:DWORD
	s_mov_b32 s12, 0xffff
	v_bitop3_b32 v2, v3, s12, v2 bitop3:0xc8
	global_store_dword v[4:5], v2, off
.LBB8_1047:
	s_mov_b64 s[12:13], 0
.LBB8_1048:
	s_andn2_b64 vcc, exec, s[12:13]
	s_cbranch_vccnz .LBB8_1057
; %bb.1049:
	s_sext_i32_i16 s14, s26
	s_cmp_lt_i32 s14, 6
	s_mov_b64 s[12:13], -1
	s_cbranch_scc1 .LBB8_1055
; %bb.1050:
	s_cmp_gt_i32 s14, 6
	s_cbranch_scc0 .LBB8_1052
; %bb.1051:
	s_mov_b64 s[12:13], 0
	global_store_dwordx2 v[4:5], v[0:1], off
.LBB8_1052:
	s_andn2_b64 vcc, exec, s[12:13]
	s_cbranch_vccnz .LBB8_1054
; %bb.1053:
	s_waitcnt vmcnt(0)
	v_cvt_f32_f64_e32 v2, v[0:1]
	global_store_dword v[4:5], v2, off
.LBB8_1054:
	s_mov_b64 s[12:13], 0
.LBB8_1055:
	s_andn2_b64 vcc, exec, s[12:13]
	s_cbranch_vccnz .LBB8_1057
; %bb.1056:
	s_movk_i32 s12, 0x1ff
	s_waitcnt vmcnt(0)
	v_and_or_b32 v2, v1, s12, v0
	v_cmp_ne_u32_e32 vcc, 0, v2
	v_lshrrev_b32_e32 v3, 8, v1
	s_movk_i32 s12, 0xffe
	v_cndmask_b32_e64 v2, 0, 1, vcc
	v_bfe_u32 v6, v1, 20, 11
	v_and_or_b32 v2, v3, s12, v2
	v_sub_u32_e32 v7, 0x3f1, v6
	v_or_b32_e32 v3, 0x1000, v2
	v_med3_i32 v7, v7, 0, 13
	v_lshrrev_b32_e32 v8, v7, v3
	v_lshlrev_b32_e32 v7, v7, v8
	v_cmp_ne_u32_e32 vcc, v7, v3
	v_add_u32_e32 v6, 0xfffffc10, v6
	v_lshl_or_b32 v7, v6, 12, v2
	v_cndmask_b32_e64 v3, 0, 1, vcc
	v_or_b32_e32 v3, v8, v3
	v_cmp_gt_i32_e32 vcc, 1, v6
	s_movk_i32 s12, 0x40f
	s_nop 0
	v_cndmask_b32_e32 v3, v7, v3, vcc
	v_and_b32_e32 v7, 7, v3
	v_cmp_lt_i32_e32 vcc, 5, v7
	v_lshrrev_b32_e32 v3, 2, v3
	s_nop 0
	v_cndmask_b32_e64 v8, 0, 1, vcc
	v_cmp_eq_u32_e32 vcc, 3, v7
	s_nop 1
	v_cndmask_b32_e64 v7, 0, 1, vcc
	v_or_b32_e32 v7, v7, v8
	v_add_u32_e32 v3, v3, v7
	v_mov_b32_e32 v7, 0x7c00
	v_cmp_gt_i32_e32 vcc, 31, v6
	v_mov_b32_e32 v8, 0x7e00
	s_nop 0
	v_cndmask_b32_e32 v3, v7, v3, vcc
	v_cmp_ne_u32_e32 vcc, 0, v2
	s_nop 1
	v_cndmask_b32_e32 v2, v7, v8, vcc
	v_cmp_eq_u32_e32 vcc, s12, v6
	s_mov_b32 s12, 0x8000
	s_nop 0
	v_cndmask_b32_e32 v2, v3, v2, vcc
	v_lshrrev_b32_e32 v3, 16, v1
	v_and_or_b32 v2, v3, s12, v2
	global_store_short v[4:5], v2, off
.LBB8_1057:
	s_mov_b64 s[12:13], 0
.LBB8_1058:
	s_andn2_b64 vcc, exec, s[12:13]
	s_cbranch_vccnz .LBB8_1074
; %bb.1059:
	s_sext_i32_i16 s14, s26
	s_cmp_lt_i32 s14, 2
	s_mov_b64 s[12:13], -1
	s_cbranch_scc1 .LBB8_1069
; %bb.1060:
	s_cmp_lt_i32 s14, 3
	s_cbranch_scc1 .LBB8_1066
; %bb.1061:
	s_cmp_gt_i32 s14, 3
	s_cbranch_scc0 .LBB8_1063
; %bb.1062:
	s_waitcnt vmcnt(0)
	v_trunc_f64_e32 v[2:3], v[0:1]
	s_movk_i32 s12, 0xffe0
	v_ldexp_f64 v[6:7], v[2:3], s12
	v_floor_f64_e32 v[6:7], v[6:7]
	v_fmac_f64_e32 v[2:3], 0xc1f00000, v[6:7]
	v_cvt_i32_f64_e32 v9, v[6:7]
	v_cvt_u32_f64_e32 v8, v[2:3]
	s_mov_b64 s[12:13], 0
	global_store_dwordx2 v[4:5], v[8:9], off
.LBB8_1063:
	s_andn2_b64 vcc, exec, s[12:13]
	s_cbranch_vccnz .LBB8_1065
; %bb.1064:
	s_waitcnt vmcnt(0)
	v_cvt_i32_f64_e32 v2, v[0:1]
	global_store_dword v[4:5], v2, off
.LBB8_1065:
	s_mov_b64 s[12:13], 0
.LBB8_1066:
	s_andn2_b64 vcc, exec, s[12:13]
	s_cbranch_vccnz .LBB8_1068
; %bb.1067:
	s_waitcnt vmcnt(0)
	v_cvt_i32_f64_e32 v2, v[0:1]
	global_store_short v[4:5], v2, off
.LBB8_1068:
	s_mov_b64 s[12:13], 0
.LBB8_1069:
	s_andn2_b64 vcc, exec, s[12:13]
	s_cbranch_vccnz .LBB8_1074
; %bb.1070:
	s_sext_i32_i16 s12, s26
	s_cmp_gt_i32 s12, 0
	s_mov_b64 s[12:13], -1
	s_cbranch_scc0 .LBB8_1072
; %bb.1071:
	s_waitcnt vmcnt(0)
	v_cvt_i32_f64_e32 v2, v[0:1]
	s_mov_b64 s[12:13], 0
	global_store_byte v[4:5], v2, off
.LBB8_1072:
	s_andn2_b64 vcc, exec, s[12:13]
	s_cbranch_vccnz .LBB8_1074
; %bb.1073:
	v_trunc_f64_e32 v[0:1], v[0:1]
	s_movk_i32 s12, 0xffe0
	s_waitcnt vmcnt(0)
	v_ldexp_f64 v[2:3], v[0:1], s12
	v_floor_f64_e32 v[2:3], v[2:3]
	v_fmac_f64_e32 v[0:1], 0xc1f00000, v[2:3]
	v_cvt_u32_f64_e32 v0, v[0:1]
	global_store_byte v[4:5], v0, off
.LBB8_1074:
	s_or_b64 exec, exec, s[0:1]
	s_and_b64 s[12:13], s[16:17], exec
                                        ; implicit-def: $vgpr14
.LBB8_1075:
	s_or_saveexec_b64 s[2:3], s[2:3]
	s_mov_b64 s[0:1], 0
                                        ; implicit-def: $sgpr20
                                        ; implicit-def: $vgpr0_vgpr1
                                        ; implicit-def: $vgpr12_vgpr13
	s_xor_b64 exec, exec, s[2:3]
	s_cbranch_execz .LBB8_1717
; %bb.1076:
	s_waitcnt vmcnt(0)
	v_mul_lo_u32 v2, s9, v14
	v_ashrrev_i32_e32 v3, 31, v2
	s_and_b32 s22, 0xffff, s42
	s_cmp_lt_i32 s22, 11
	v_lshl_add_u64 v[0:1], s[6:7], 0, v[2:3]
	s_cbranch_scc1 .LBB8_1083
; %bb.1077:
	s_cmp_gt_i32 s22, 25
	s_cbranch_scc0 .LBB8_1085
; %bb.1078:
	s_cmp_gt_i32 s22, 28
	s_cbranch_scc0 .LBB8_1086
	;; [unrolled: 3-line block ×4, first 2 shown]
; %bb.1081:
	s_cmp_eq_u32 s22, 46
	s_mov_b64 s[14:15], 0
	s_cbranch_scc0 .LBB8_1091
; %bb.1082:
	global_load_dword v3, v[0:1], off
	s_mov_b64 s[16:17], -1
	s_waitcnt vmcnt(0)
	v_lshlrev_b32_e32 v3, 16, v3
	v_cvt_f64_f32_e32 v[4:5], v3
	s_branch .LBB8_1092
.LBB8_1083:
	s_mov_b64 s[16:17], 0
                                        ; implicit-def: $vgpr4_vgpr5
	s_mov_b64 s[14:15], s[12:13]
	s_cbranch_execnz .LBB8_1155
.LBB8_1084:
	s_andn2_b64 vcc, exec, s[16:17]
	s_cbranch_vccz .LBB8_1200
	s_branch .LBB8_1714
.LBB8_1085:
	s_mov_b64 s[16:17], 0
                                        ; implicit-def: $vgpr4_vgpr5
	s_cbranch_execnz .LBB8_1122
	s_branch .LBB8_1151
.LBB8_1086:
	s_mov_b64 s[14:15], -1
	s_mov_b64 s[16:17], 0
                                        ; implicit-def: $vgpr4_vgpr5
	s_branch .LBB8_1101
.LBB8_1087:
	s_mov_b64 s[16:17], 0
                                        ; implicit-def: $vgpr4_vgpr5
	s_cbranch_execnz .LBB8_1097
	s_branch .LBB8_1100
.LBB8_1088:
	s_mov_b64 s[14:15], -1
	s_mov_b64 s[16:17], 0
                                        ; implicit-def: $vgpr4_vgpr5
	s_branch .LBB8_1092
.LBB8_1089:
	s_andn2_saveexec_b64 s[22:23], s[22:23]
	s_cbranch_execz .LBB8_984
.LBB8_1090:
	s_mov_b32 s24, 0x46000000
	v_add_f32_e64 v3, |v2|, s24
	v_and_b32_e32 v3, 0xff, v3
	v_cmp_ne_u32_e32 vcc, 0, v3
	s_andn2_b64 s[20:21], s[20:21], exec
	s_and_b64 s[24:25], vcc, exec
	s_or_b64 s[20:21], s[20:21], s[24:25]
	s_or_b64 exec, exec, s[22:23]
	v_mov_b32_e32 v6, 0
	s_and_saveexec_b64 s[22:23], s[20:21]
	s_cbranch_execnz .LBB8_985
	s_branch .LBB8_986
.LBB8_1091:
	s_mov_b64 s[0:1], -1
                                        ; implicit-def: $vgpr4_vgpr5
	s_mov_b64 s[16:17], 0
.LBB8_1092:
	s_and_b64 vcc, exec, s[14:15]
	s_cbranch_vccz .LBB8_1095
; %bb.1093:
	s_cmp_eq_u32 s22, 44
	s_cbranch_scc0 .LBB8_1096
; %bb.1094:
	global_load_ubyte v3, v[0:1], off
	s_movk_i32 s14, 0xff
	v_bfrev_b32_e32 v6, 4
	v_mov_b32_e32 v7, 0x7ff80000
	v_bfrev_b32_e32 v8, 28
	s_mov_b64 s[0:1], 0
	s_mov_b64 s[16:17], -1
	s_waitcnt vmcnt(0)
	v_lshlrev_b32_e32 v4, 23, v3
	v_cvt_f64_f32_e32 v[4:5], v4
	v_cmp_ne_u32_e32 vcc, s14, v3
	s_nop 1
	v_cndmask_b32_e32 v4, v6, v4, vcc
	v_cndmask_b32_e32 v5, v7, v5, vcc
	v_cmp_ne_u32_e32 vcc, 0, v3
	s_nop 1
	v_cndmask_b32_e32 v5, v8, v5, vcc
	v_cndmask_b32_e32 v4, 0, v4, vcc
.LBB8_1095:
	s_branch .LBB8_1100
.LBB8_1096:
	s_mov_b64 s[0:1], -1
                                        ; implicit-def: $vgpr4_vgpr5
	s_branch .LBB8_1100
.LBB8_1097:
	s_cmp_eq_u32 s22, 29
	s_cbranch_scc0 .LBB8_1099
; %bb.1098:
	global_load_dwordx2 v[4:5], v[0:1], off
	s_mov_b64 s[0:1], 0
	s_mov_b64 s[16:17], -1
	s_mov_b64 s[14:15], 0
	s_waitcnt vmcnt(0)
	v_cvt_f64_u32_e32 v[6:7], v5
	v_cvt_f64_u32_e32 v[4:5], v4
	v_ldexp_f64 v[6:7], v[6:7], 32
	v_add_f64 v[4:5], v[6:7], v[4:5]
	s_branch .LBB8_1101
.LBB8_1099:
	s_mov_b64 s[0:1], -1
                                        ; implicit-def: $vgpr4_vgpr5
.LBB8_1100:
	s_mov_b64 s[14:15], 0
.LBB8_1101:
	s_and_b64 vcc, exec, s[14:15]
	s_cbranch_vccz .LBB8_1121
; %bb.1102:
	s_cmp_lt_i32 s22, 27
	s_cbranch_scc1 .LBB8_1105
; %bb.1103:
	s_cmp_gt_i32 s22, 27
	s_cbranch_scc0 .LBB8_1106
; %bb.1104:
	global_load_dword v3, v[0:1], off
	s_mov_b64 s[14:15], 0
	s_waitcnt vmcnt(0)
	v_cvt_f64_u32_e32 v[4:5], v3
	s_branch .LBB8_1107
.LBB8_1105:
	s_mov_b64 s[14:15], -1
                                        ; implicit-def: $vgpr4_vgpr5
	s_branch .LBB8_1110
.LBB8_1106:
	s_mov_b64 s[14:15], -1
                                        ; implicit-def: $vgpr4_vgpr5
.LBB8_1107:
	s_andn2_b64 vcc, exec, s[14:15]
	s_cbranch_vccnz .LBB8_1109
; %bb.1108:
	global_load_ushort v3, v[0:1], off
	s_waitcnt vmcnt(0)
	v_cvt_f64_u32_e32 v[4:5], v3
.LBB8_1109:
	s_mov_b64 s[14:15], 0
.LBB8_1110:
	s_andn2_b64 vcc, exec, s[14:15]
	s_cbranch_vccnz .LBB8_1120
; %bb.1111:
	global_load_ubyte v3, v[0:1], off
	s_movk_i32 s14, 0x7f
	s_waitcnt vmcnt(0)
	v_cmp_lt_i16_e32 vcc, s14, v3
	s_mov_b64 s[14:15], 0
	s_and_saveexec_b64 s[16:17], vcc
	s_xor_b64 s[16:17], exec, s[16:17]
	s_cbranch_execz .LBB8_1115
; %bb.1112:
	s_movk_i32 s14, 0x80
	v_cmp_eq_u16_e32 vcc, s14, v3
	s_mov_b64 s[14:15], -1
	s_and_saveexec_b64 s[18:19], vcc
; %bb.1113:
	s_xor_b64 s[14:15], exec, -1
; %bb.1114:
	s_or_b64 exec, exec, s[18:19]
	s_and_b64 s[14:15], s[14:15], exec
.LBB8_1115:
	s_or_saveexec_b64 s[16:17], s[16:17]
	v_bfrev_b32_e32 v4, 4
	v_mov_b32_e32 v5, 0x7ff80000
	s_xor_b64 exec, exec, s[16:17]
; %bb.1116:
	v_cmp_ne_u16_e32 vcc, 0, v3
	s_andn2_b64 s[14:15], s[14:15], exec
	s_and_b64 s[18:19], vcc, exec
	v_mov_b64_e32 v[4:5], 0
	s_or_b64 s[14:15], s[14:15], s[18:19]
; %bb.1117:
	s_or_b64 exec, exec, s[16:17]
	s_and_saveexec_b64 s[16:17], s[14:15]
	s_cbranch_execz .LBB8_1119
; %bb.1118:
	v_lshlrev_b32_e32 v4, 24, v3
	v_and_b32_e32 v3, 0xffff, v3
	v_and_b32_e32 v5, 7, v3
	v_ffbh_u32_e32 v7, v5
	v_min_u32_e32 v7, 32, v7
	v_subrev_u32_e32 v8, 28, v7
	v_bfe_u32 v6, v3, 3, 4
	v_lshlrev_b32_e32 v3, v8, v3
	v_sub_u32_e32 v7, 29, v7
	v_and_b32_e32 v3, 7, v3
	v_cmp_eq_u32_e32 vcc, 0, v6
	v_and_b32_e32 v4, 0x80000000, v4
	s_nop 0
	v_cndmask_b32_e32 v6, v6, v7, vcc
	v_cndmask_b32_e32 v3, v5, v3, vcc
	v_mov_b32_e32 v5, 0x3b800000
	v_lshlrev_b32_e32 v3, 20, v3
	v_lshl_add_u32 v5, v6, 23, v5
	v_or3_b32 v3, v4, v5, v3
	v_cvt_f64_f32_e32 v[4:5], v3
.LBB8_1119:
	s_or_b64 exec, exec, s[16:17]
.LBB8_1120:
	s_mov_b64 s[16:17], -1
.LBB8_1121:
	s_branch .LBB8_1151
.LBB8_1122:
	s_cmp_gt_i32 s22, 22
	s_cbranch_scc0 .LBB8_1134
; %bb.1123:
	s_cmp_lt_i32 s22, 24
	s_cbranch_scc1 .LBB8_1135
; %bb.1124:
	s_cmp_gt_i32 s22, 24
	s_cbranch_scc0 .LBB8_1136
; %bb.1125:
	global_load_ubyte v3, v[0:1], off
	s_movk_i32 s10, 0x7f
	s_waitcnt vmcnt(0)
	v_cmp_lt_i16_e32 vcc, s10, v3
	s_mov_b64 s[10:11], 0
	s_and_saveexec_b64 s[14:15], vcc
	s_xor_b64 s[14:15], exec, s[14:15]
	s_cbranch_execz .LBB8_1129
; %bb.1126:
	s_movk_i32 s10, 0x80
	v_cmp_eq_u16_e32 vcc, s10, v3
	s_mov_b64 s[10:11], -1
	s_and_saveexec_b64 s[16:17], vcc
; %bb.1127:
	s_xor_b64 s[10:11], exec, -1
; %bb.1128:
	s_or_b64 exec, exec, s[16:17]
	s_and_b64 s[10:11], s[10:11], exec
.LBB8_1129:
	s_or_saveexec_b64 s[14:15], s[14:15]
	v_bfrev_b32_e32 v4, 4
	v_mov_b32_e32 v5, 0x7ff80000
	s_xor_b64 exec, exec, s[14:15]
; %bb.1130:
	v_cmp_ne_u16_e32 vcc, 0, v3
	s_andn2_b64 s[10:11], s[10:11], exec
	s_and_b64 s[16:17], vcc, exec
	v_mov_b64_e32 v[4:5], 0
	s_or_b64 s[10:11], s[10:11], s[16:17]
; %bb.1131:
	s_or_b64 exec, exec, s[14:15]
	s_and_saveexec_b64 s[14:15], s[10:11]
	s_cbranch_execz .LBB8_1133
; %bb.1132:
	v_lshlrev_b32_e32 v4, 24, v3
	v_and_b32_e32 v3, 0xffff, v3
	v_and_b32_e32 v5, 3, v3
	v_ffbh_u32_e32 v7, v5
	v_min_u32_e32 v7, 32, v7
	v_subrev_u32_e32 v8, 29, v7
	v_bfe_u32 v6, v3, 2, 5
	v_lshlrev_b32_e32 v3, v8, v3
	v_sub_u32_e32 v7, 30, v7
	v_and_b32_e32 v3, 3, v3
	v_cmp_eq_u32_e32 vcc, 0, v6
	v_and_b32_e32 v4, 0x80000000, v4
	s_nop 0
	v_cndmask_b32_e32 v6, v6, v7, vcc
	v_cndmask_b32_e32 v3, v5, v3, vcc
	v_mov_b32_e32 v5, 0x37800000
	v_lshlrev_b32_e32 v3, 21, v3
	v_lshl_add_u32 v5, v6, 23, v5
	v_or3_b32 v3, v4, v5, v3
	v_cvt_f64_f32_e32 v[4:5], v3
.LBB8_1133:
	s_or_b64 exec, exec, s[14:15]
	s_mov_b64 s[10:11], 0
	s_branch .LBB8_1137
.LBB8_1134:
                                        ; implicit-def: $vgpr4_vgpr5
	s_mov_b64 s[10:11], 0
	s_branch .LBB8_1143
.LBB8_1135:
	s_mov_b64 s[10:11], -1
                                        ; implicit-def: $vgpr4_vgpr5
	s_branch .LBB8_1140
.LBB8_1136:
	s_mov_b64 s[10:11], -1
                                        ; implicit-def: $vgpr4_vgpr5
.LBB8_1137:
	s_and_b64 vcc, exec, s[10:11]
	s_cbranch_vccz .LBB8_1139
; %bb.1138:
	global_load_ubyte v3, v[0:1], off
	s_mov_b32 s10, 0x7f800000
	s_waitcnt vmcnt(0)
	v_lshlrev_b32_e32 v3, 24, v3
	v_and_b32_e32 v4, 0x7f000000, v3
	v_ffbh_u32_e32 v5, v4
	v_min_u32_e32 v5, 32, v5
	v_sub_u32_e64 v5, v5, 4 clamp
	v_lshlrev_b32_e32 v7, v5, v4
	v_lshlrev_b32_e32 v5, 23, v5
	v_lshrrev_b32_e32 v7, 4, v7
	v_add_u32_e32 v6, 0x1000000, v4
	v_sub_u32_e32 v5, v7, v5
	v_ashrrev_i32_e32 v6, 8, v6
	v_add_u32_e32 v5, 0x3c000000, v5
	v_and_or_b32 v5, v6, s10, v5
	v_cmp_ne_u32_e32 vcc, 0, v4
	s_brev_b32 s10, 1
	s_nop 0
	v_cndmask_b32_e32 v4, 0, v5, vcc
	v_and_or_b32 v3, v3, s10, v4
	v_cvt_f64_f32_e32 v[4:5], v3
.LBB8_1139:
	s_mov_b64 s[10:11], 0
.LBB8_1140:
	s_andn2_b64 vcc, exec, s[10:11]
	s_cbranch_vccnz .LBB8_1142
; %bb.1141:
	global_load_ubyte v3, v[0:1], off
	s_movk_i32 s10, 0x7f00
	s_brev_b32 s11, 16
	s_waitcnt vmcnt(0)
	v_lshlrev_b16_e32 v4, 8, v3
	v_lshlrev_b32_e32 v3, 25, v3
	v_lshrrev_b32_e32 v5, 4, v3
	v_and_or_b32 v6, v4, s10, 0.5
	v_or_b32_e32 v5, 0x70000000, v5
	v_add_f32_e32 v6, -0.5, v6
	v_mul_f32_e32 v5, 0x7800000, v5
	v_cmp_gt_u32_e32 vcc, s11, v3
	v_bfe_i32 v4, v4, 0, 16
	s_brev_b32 s10, 1
	v_cndmask_b32_e32 v3, v5, v6, vcc
	v_and_or_b32 v3, v4, s10, v3
	v_cvt_f64_f32_e32 v[4:5], v3
.LBB8_1142:
	s_mov_b64 s[16:17], -1
	s_mov_b64 s[10:11], 0
	s_cbranch_execnz .LBB8_1151
.LBB8_1143:
	s_cmp_gt_i32 s22, 14
	s_cbranch_scc0 .LBB8_1146
; %bb.1144:
	s_cmp_eq_u32 s22, 15
	s_cbranch_scc0 .LBB8_1147
; %bb.1145:
	global_load_ushort v3, v[0:1], off
	s_mov_b64 s[0:1], 0
	s_mov_b64 s[16:17], -1
	s_waitcnt vmcnt(0)
	v_lshlrev_b32_e32 v3, 16, v3
	v_cvt_f64_f32_e32 v[4:5], v3
	s_branch .LBB8_1148
.LBB8_1146:
	s_mov_b64 s[14:15], -1
                                        ; implicit-def: $vgpr4_vgpr5
	s_branch .LBB8_1149
.LBB8_1147:
	s_mov_b64 s[0:1], -1
                                        ; implicit-def: $vgpr4_vgpr5
.LBB8_1148:
	s_mov_b64 s[14:15], 0
.LBB8_1149:
	s_and_b64 vcc, exec, s[14:15]
	s_cbranch_vccz .LBB8_1151
; %bb.1150:
	s_cmp_lg_u32 s22, 11
	s_mov_b64 s[10:11], -1
	s_cselect_b64 s[0:1], -1, 0
.LBB8_1151:
	s_and_b64 vcc, exec, s[0:1]
	s_mov_b64 s[14:15], s[12:13]
	s_cbranch_vccnz .LBB8_1224
; %bb.1152:
	s_andn2_b64 vcc, exec, s[10:11]
	s_cbranch_vccnz .LBB8_1154
.LBB8_1153:
	global_load_ubyte v3, v[0:1], off
	v_mov_b32_e32 v5, 0x3ff00000
	v_mov_b32_e32 v4, 0
	s_mov_b64 s[16:17], -1
	s_waitcnt vmcnt(0)
	v_cmp_ne_u16_e32 vcc, 0, v3
	s_nop 1
	v_cndmask_b32_e32 v5, 0, v5, vcc
.LBB8_1154:
	s_branch .LBB8_1084
.LBB8_1155:
	s_cmp_lt_i32 s22, 5
	s_cbranch_scc1 .LBB8_1160
; %bb.1156:
	s_cmp_lt_i32 s22, 8
	s_cbranch_scc1 .LBB8_1161
; %bb.1157:
	;; [unrolled: 3-line block ×3, first 2 shown]
	s_cmp_gt_i32 s22, 9
	s_cbranch_scc0 .LBB8_1163
; %bb.1159:
	global_load_dwordx2 v[4:5], v[0:1], off
	s_mov_b64 s[0:1], 0
	s_branch .LBB8_1164
.LBB8_1160:
                                        ; implicit-def: $vgpr4_vgpr5
	s_branch .LBB8_1181
.LBB8_1161:
                                        ; implicit-def: $vgpr4_vgpr5
	s_branch .LBB8_1170
.LBB8_1162:
	s_mov_b64 s[0:1], -1
                                        ; implicit-def: $vgpr4_vgpr5
	s_branch .LBB8_1167
.LBB8_1163:
	s_mov_b64 s[0:1], -1
                                        ; implicit-def: $vgpr4_vgpr5
.LBB8_1164:
	s_andn2_b64 vcc, exec, s[0:1]
	s_cbranch_vccnz .LBB8_1166
; %bb.1165:
	global_load_dword v3, v[0:1], off
	s_waitcnt vmcnt(0)
	v_cvt_f64_f32_e32 v[4:5], v3
.LBB8_1166:
	s_mov_b64 s[0:1], 0
.LBB8_1167:
	s_andn2_b64 vcc, exec, s[0:1]
	s_cbranch_vccnz .LBB8_1169
; %bb.1168:
	global_load_dword v3, v[0:1], off
	s_waitcnt vmcnt(0)
	v_cvt_f32_f16_e32 v3, v3
	v_cvt_f64_f32_e32 v[4:5], v3
.LBB8_1169:
	s_cbranch_execnz .LBB8_1180
.LBB8_1170:
	s_cmp_lt_i32 s22, 6
	s_cbranch_scc1 .LBB8_1173
; %bb.1171:
	s_cmp_gt_i32 s22, 6
	s_cbranch_scc0 .LBB8_1174
; %bb.1172:
	global_load_dwordx2 v[4:5], v[0:1], off
	s_mov_b64 s[0:1], 0
	s_branch .LBB8_1175
.LBB8_1173:
	s_mov_b64 s[0:1], -1
                                        ; implicit-def: $vgpr4_vgpr5
	s_branch .LBB8_1178
.LBB8_1174:
	s_mov_b64 s[0:1], -1
                                        ; implicit-def: $vgpr4_vgpr5
.LBB8_1175:
	s_andn2_b64 vcc, exec, s[0:1]
	s_cbranch_vccnz .LBB8_1177
; %bb.1176:
	global_load_dword v3, v[0:1], off
	s_waitcnt vmcnt(0)
	v_cvt_f64_f32_e32 v[4:5], v3
.LBB8_1177:
	s_mov_b64 s[0:1], 0
.LBB8_1178:
	s_andn2_b64 vcc, exec, s[0:1]
	s_cbranch_vccnz .LBB8_1180
; %bb.1179:
	global_load_ushort v3, v[0:1], off
	s_waitcnt vmcnt(0)
	v_cvt_f32_f16_e32 v3, v3
	v_cvt_f64_f32_e32 v[4:5], v3
.LBB8_1180:
	s_cbranch_execnz .LBB8_1199
.LBB8_1181:
	s_cmp_lt_i32 s22, 2
	s_cbranch_scc1 .LBB8_1185
; %bb.1182:
	s_cmp_lt_i32 s22, 3
	s_cbranch_scc1 .LBB8_1186
; %bb.1183:
	s_cmp_gt_i32 s22, 3
	s_cbranch_scc0 .LBB8_1187
; %bb.1184:
	global_load_dwordx2 v[4:5], v[0:1], off
	s_mov_b64 s[0:1], 0
	s_waitcnt vmcnt(0)
	v_cvt_f64_i32_e32 v[6:7], v5
	v_cvt_f64_u32_e32 v[4:5], v4
	v_ldexp_f64 v[6:7], v[6:7], 32
	v_add_f64 v[4:5], v[6:7], v[4:5]
	s_branch .LBB8_1188
.LBB8_1185:
                                        ; implicit-def: $vgpr4_vgpr5
	s_branch .LBB8_1194
.LBB8_1186:
	s_mov_b64 s[0:1], -1
                                        ; implicit-def: $vgpr4_vgpr5
	s_branch .LBB8_1191
.LBB8_1187:
	s_mov_b64 s[0:1], -1
                                        ; implicit-def: $vgpr4_vgpr5
.LBB8_1188:
	s_andn2_b64 vcc, exec, s[0:1]
	s_cbranch_vccnz .LBB8_1190
; %bb.1189:
	global_load_dword v3, v[0:1], off
	s_waitcnt vmcnt(0)
	v_cvt_f64_i32_e32 v[4:5], v3
.LBB8_1190:
	s_mov_b64 s[0:1], 0
.LBB8_1191:
	s_andn2_b64 vcc, exec, s[0:1]
	s_cbranch_vccnz .LBB8_1193
; %bb.1192:
	global_load_sshort v3, v[0:1], off
	s_waitcnt vmcnt(0)
	v_cvt_f64_i32_e32 v[4:5], v3
.LBB8_1193:
	s_cbranch_execnz .LBB8_1199
.LBB8_1194:
	s_cmp_gt_i32 s22, 0
	s_cbranch_scc0 .LBB8_1196
; %bb.1195:
	global_load_sbyte v3, v[0:1], off
	s_mov_b64 s[0:1], 0
	s_waitcnt vmcnt(0)
	v_cvt_f64_i32_e32 v[4:5], v3
	s_branch .LBB8_1197
.LBB8_1196:
	s_mov_b64 s[0:1], -1
                                        ; implicit-def: $vgpr4_vgpr5
.LBB8_1197:
	s_andn2_b64 vcc, exec, s[0:1]
	s_cbranch_vccnz .LBB8_1199
; %bb.1198:
	global_load_ubyte v0, v[0:1], off
	s_waitcnt vmcnt(0)
	v_cvt_f64_u32_e32 v[4:5], v0
.LBB8_1199:
.LBB8_1200:
	s_mov_b32 s0, 0
	s_mov_b32 s1, 0x40200000
	s_waitcnt vmcnt(0)
	v_cmp_le_f64_e64 s[0:1], |v[4:5]|, s[0:1]
                                        ; implicit-def: $vgpr0_vgpr1
	s_and_saveexec_b64 s[10:11], s[0:1]
	s_xor_b64 s[0:1], exec, s[10:11]
	s_cbranch_execz .LBB8_1206
; %bb.1201:
	s_mov_b32 s10, 0xc3c4014
	v_fma_f64 v[0:1], |v[4:5]|, 0.5, -2.0
	v_mov_b32_e32 v6, 0xc38a0576
	v_mov_b32_e32 v7, 0xbc7857d0
	s_mov_b32 s11, 0x3c499f2a
	v_fmac_f64_e32 v[6:7], s[10:11], v[0:1]
	v_mov_b32_e32 v8, 0xc3c4014
	v_mov_b32_e32 v9, 0xbc499f2a
	s_mov_b32 s10, 0xe593bfac
	v_fmac_f64_e32 v[8:9], v[0:1], v[6:7]
	s_mov_b32 s11, 0x3ca663e3
	v_add_f64 v[8:9], v[8:9], s[10:11]
	s_mov_b32 s10, 0x7e0d1573
	v_fma_f64 v[6:7], v[0:1], v[8:9], -v[6:7]
	s_mov_b32 s11, 0xbcd3eaaa
	v_add_f64 v[6:7], v[6:7], s[10:11]
	s_mov_b32 s10, 0x615290c
	v_fma_f64 v[8:9], v[0:1], v[6:7], -v[8:9]
	;; [unrolled: 4-line block ×26, first 2 shown]
	s_mov_b32 s11, 0x3fd02a63
	v_add_f64 v[0:1], v[0:1], s[10:11]
	v_add_f64 v[0:1], v[0:1], -v[8:9]
	s_mov_b32 s10, 0x652b82fe
	v_mul_f64 v[0:1], v[0:1], 0.5
	s_mov_b32 s11, 0x3ff71547
	v_mul_f64 v[6:7], |v[4:5]|, v[0:1]
	v_mul_f64 v[0:1], |v[4:5]|, s[10:11]
	s_mov_b32 s10, 0xfefa39ef
	v_rndne_f64_e32 v[0:1], v[0:1]
	s_mov_b32 s11, 0xbfe62e42
	v_fma_f64 v[8:9], v[0:1], s[10:11], |v[4:5]|
	s_mov_b32 s10, 0x3b39803f
	s_mov_b32 s11, 0xbc7abc9e
	v_fmac_f64_e32 v[8:9], s[10:11], v[0:1]
	s_mov_b32 s10, 0x6a5dcb37
	v_mov_b32_e32 v10, 0xfca7ab0c
	v_mov_b32_e32 v11, 0x3e928af3
	s_mov_b32 s11, 0x3e5ade15
	v_fmac_f64_e32 v[10:11], s[10:11], v[8:9]
	v_mov_b32_e32 v12, 0x623fde64
	v_mov_b32_e32 v13, 0x3ec71dee
	v_fmac_f64_e32 v[12:13], v[8:9], v[10:11]
	v_mov_b32_e32 v10, 0x7c89e6b0
	v_mov_b32_e32 v11, 0x3efa0199
	;; [unrolled: 3-line block ×8, first 2 shown]
	v_fmac_f64_e32 v[10:11], v[8:9], v[12:13]
	v_fma_f64 v[10:11], v[8:9], v[10:11], 1.0
	v_cmp_ngt_f64_e32 vcc, 0, v[4:5]
	v_fma_f64 v[8:9], v[8:9], v[10:11], 1.0
	v_cvt_i32_f64_e32 v3, v[0:1]
                                        ; implicit-def: $vgpr0_vgpr1
	s_and_saveexec_b64 s[10:11], vcc
	s_xor_b64 s[10:11], exec, s[10:11]
; %bb.1202:
	s_mov_b32 s16, 0
	s_mov_b32 s17, 0x40900000
	v_ldexp_f64 v[0:1], v[8:9], v3
	v_mov_b32_e32 v3, 0x7ff00000
	v_cmp_ngt_f64_e64 vcc, |v[4:5]|, s[16:17]
                                        ; implicit-def: $vgpr8_vgpr9
                                        ; implicit-def: $vgpr4_vgpr5
	s_nop 1
	v_cndmask_b32_e32 v1, v3, v1, vcc
	v_cndmask_b32_e32 v0, 0, v0, vcc
	v_mul_f64 v[0:1], v[0:1], v[6:7]
                                        ; implicit-def: $vgpr3
                                        ; implicit-def: $vgpr6_vgpr7
; %bb.1203:
	s_andn2_saveexec_b64 s[10:11], s[10:11]
; %bb.1204:
	s_mov_b32 s16, 0
	s_mov_b32 s17, 0x40900000
	v_ldexp_f64 v[0:1], -v[8:9], v3
	v_mov_b32_e32 v3, 0xfff00000
	v_cmp_ngt_f64_e64 vcc, |v[4:5]|, s[16:17]
	s_nop 1
	v_cndmask_b32_e32 v1, v3, v1, vcc
	v_cndmask_b32_e32 v0, 0, v0, vcc
	v_mul_f64 v[0:1], v[0:1], v[6:7]
; %bb.1205:
	s_or_b64 exec, exec, s[10:11]
                                        ; implicit-def: $vgpr4_vgpr5
.LBB8_1206:
	s_andn2_saveexec_b64 s[10:11], s[0:1]
	s_cbranch_execz .LBB8_1212
; %bb.1207:
	s_mov_b32 s0, 0
	v_and_b32_e32 v1, 0x7fffffff, v5
	v_mov_b32_e32 v0, v4
	s_mov_b32 s1, 0x40400000
	v_div_scale_f64 v[6:7], s[16:17], v[0:1], v[0:1], s[0:1]
	v_rcp_f64_e32 v[8:9], v[6:7]
	v_div_scale_f64 v[0:1], vcc, s[0:1], v[0:1], s[0:1]
	v_mov_b32_e32 v12, 0xfca7ab0c
	v_fma_f64 v[10:11], -v[6:7], v[8:9], 1.0
	v_fmac_f64_e32 v[8:9], v[8:9], v[10:11]
	v_fma_f64 v[10:11], -v[6:7], v[8:9], 1.0
	v_fmac_f64_e32 v[8:9], v[8:9], v[10:11]
	v_mul_f64 v[10:11], v[0:1], v[8:9]
	v_fma_f64 v[0:1], -v[6:7], v[10:11], v[0:1]
	v_div_fmas_f64 v[0:1], v[0:1], v[8:9], v[10:11]
	v_div_fixup_f64 v[0:1], v[0:1], |v[4:5]|, s[0:1]
	s_mov_b32 s0, 0xb352e8e6
	v_add_f64 v[0:1], v[0:1], -2.0
	v_mov_b32_e32 v6, 0xea87b950
	v_mov_b32_e32 v7, 0x3c545b8a
	s_mov_b32 s1, 0x3c61556d
	v_fmac_f64_e32 v[6:7], s[0:1], v[0:1]
	v_mov_b32_e32 v8, 0xb352e8e6
	v_mov_b32_e32 v9, 0xbc61556d
	s_mov_b32 s0, 0xb2532277
	v_fmac_f64_e32 v[8:9], v[0:1], v[6:7]
	s_mov_b32 s1, 0xbc8acea3
	v_add_f64 v[8:9], v[8:9], s[0:1]
	s_mov_b32 s0, 0x9c773320
	v_fma_f64 v[6:7], v[0:1], v[8:9], -v[6:7]
	s_mov_b32 s1, 0xbc82806c
	v_add_f64 v[6:7], v[6:7], s[0:1]
	s_mov_b32 s0, 0xfceb588a
	v_fma_f64 v[8:9], v[0:1], v[6:7], -v[8:9]
	;; [unrolled: 4-line block ×22, first 2 shown]
	s_mov_b32 s1, 0x3fe8ea18
	v_add_f64 v[0:1], v[0:1], s[0:1]
	s_mov_b32 s0, 0x652b82fe
	s_mov_b32 s1, 0x3ff71547
	v_mul_f64 v[6:7], |v[4:5]|, s[0:1]
	s_mov_b32 s0, 0xfefa39ef
	v_rndne_f64_e32 v[6:7], v[6:7]
	s_mov_b32 s1, 0xbfe62e42
	v_fma_f64 v[10:11], v[6:7], s[0:1], |v[4:5]|
	s_mov_b32 s0, 0x3b39803f
	s_mov_b32 s1, 0xbc7abc9e
	v_fmac_f64_e32 v[10:11], s[0:1], v[6:7]
	s_mov_b32 s0, 0x6a5dcb37
	v_mov_b32_e32 v13, 0x3e928af3
	s_mov_b32 s1, 0x3e5ade15
	v_fmac_f64_e32 v[12:13], s[0:1], v[10:11]
	v_mov_b32_e32 v16, 0x623fde64
	v_mov_b32_e32 v17, 0x3ec71dee
	v_fmac_f64_e32 v[16:17], v[10:11], v[12:13]
	v_mov_b32_e32 v12, 0x7c89e6b0
	v_mov_b32_e32 v13, 0x3efa0199
	;; [unrolled: 3-line block ×8, first 2 shown]
	v_fmac_f64_e32 v[12:13], v[10:11], v[16:17]
	v_fma_f64 v[12:13], v[10:11], v[12:13], 1.0
	s_mov_b32 s0, 0
	v_fma_f64 v[10:11], v[10:11], v[12:13], 1.0
	v_cvt_i32_f64_e32 v3, v[6:7]
	s_mov_b32 s1, 0x40900000
	v_ldexp_f64 v[6:7], v[10:11], v3
	v_mov_b32_e32 v3, 0x7ff00000
	v_cmp_ngt_f64_e64 s[0:1], |v[4:5]|, s[0:1]
	v_cmp_ngt_f64_e32 vcc, 0, v[4:5]
	v_add_f64 v[8:9], v[0:1], -v[8:9]
	v_cndmask_b32_e64 v7, v3, v7, s[0:1]
	v_cndmask_b32_e64 v6, 0, v6, s[0:1]
                                        ; implicit-def: $vgpr0_vgpr1
	s_and_saveexec_b64 s[0:1], vcc
	s_xor_b64 s[0:1], exec, s[0:1]
	s_cbranch_execz .LBB8_1209
; %bb.1208:
	s_mov_b32 s16, 0
	s_brev_b32 s17, 8
	v_mov_b32_e32 v0, 0x100
	v_cmp_lt_f64_e64 vcc, |v[4:5]|, s[16:17]
	v_mul_f64 v[8:9], v[8:9], 0.5
	v_mul_f64 v[6:7], v[6:7], v[8:9]
	v_cndmask_b32_e32 v0, 0, v0, vcc
	v_ldexp_f64 v[0:1], |v[4:5]|, v0
	v_rsq_f64_e32 v[4:5], v[0:1]
	v_mov_b32_e32 v3, 0xffffff80
	v_cndmask_b32_e32 v3, 0, v3, vcc
	v_mul_f64 v[8:9], v[0:1], v[4:5]
	v_mul_f64 v[4:5], v[4:5], 0.5
	v_fma_f64 v[10:11], -v[4:5], v[8:9], 0.5
	v_fmac_f64_e32 v[8:9], v[8:9], v[10:11]
	v_fma_f64 v[12:13], -v[8:9], v[8:9], v[0:1]
	v_fmac_f64_e32 v[4:5], v[4:5], v[10:11]
	v_fmac_f64_e32 v[8:9], v[12:13], v[4:5]
	v_fma_f64 v[10:11], -v[8:9], v[8:9], v[0:1]
	v_fmac_f64_e32 v[8:9], v[10:11], v[4:5]
	v_ldexp_f64 v[4:5], v[8:9], v3
	v_mov_b32_e32 v3, 0x260
	v_cmp_class_f64_e32 vcc, v[0:1], v3
	s_nop 1
	v_cndmask_b32_e32 v1, v5, v1, vcc
	v_cndmask_b32_e32 v0, v4, v0, vcc
	v_div_scale_f64 v[4:5], s[16:17], v[0:1], v[0:1], v[6:7]
	v_rcp_f64_e32 v[8:9], v[4:5]
	s_nop 0
	v_fma_f64 v[10:11], -v[4:5], v[8:9], 1.0
	v_fmac_f64_e32 v[8:9], v[8:9], v[10:11]
	v_fma_f64 v[10:11], -v[4:5], v[8:9], 1.0
	v_fmac_f64_e32 v[8:9], v[8:9], v[10:11]
	v_div_scale_f64 v[10:11], vcc, v[6:7], v[0:1], v[6:7]
	v_mul_f64 v[12:13], v[10:11], v[8:9]
	v_fma_f64 v[4:5], -v[4:5], v[12:13], v[10:11]
	s_nop 1
	v_div_fmas_f64 v[4:5], v[4:5], v[8:9], v[12:13]
	v_div_fixup_f64 v[0:1], v[4:5], v[0:1], v[6:7]
                                        ; implicit-def: $vgpr4_vgpr5
                                        ; implicit-def: $vgpr8_vgpr9
                                        ; implicit-def: $vgpr6_vgpr7
.LBB8_1209:
	s_andn2_saveexec_b64 s[0:1], s[0:1]
	s_cbranch_execz .LBB8_1211
; %bb.1210:
	s_mov_b32 s16, 0
	s_brev_b32 s17, 8
	v_mov_b32_e32 v0, 0x100
	v_cmp_lt_f64_e64 vcc, |v[4:5]|, s[16:17]
	v_mov_b32_e32 v3, 0xffffff80
	s_nop 0
	v_cndmask_b32_e32 v0, 0, v0, vcc
	v_ldexp_f64 v[0:1], |v[4:5]|, v0
	v_rsq_f64_e32 v[4:5], v[0:1]
	v_cndmask_b32_e32 v3, 0, v3, vcc
	v_mul_f64 v[10:11], v[0:1], v[4:5]
	v_mul_f64 v[4:5], v[4:5], 0.5
	v_fma_f64 v[12:13], -v[4:5], v[10:11], 0.5
	v_fmac_f64_e32 v[10:11], v[10:11], v[12:13]
	v_fma_f64 v[16:17], -v[10:11], v[10:11], v[0:1]
	v_fmac_f64_e32 v[4:5], v[4:5], v[12:13]
	v_fmac_f64_e32 v[10:11], v[16:17], v[4:5]
	v_fma_f64 v[12:13], -v[10:11], v[10:11], v[0:1]
	v_fmac_f64_e32 v[10:11], v[12:13], v[4:5]
	v_ldexp_f64 v[4:5], v[10:11], v3
	v_mov_b32_e32 v3, 0x260
	v_cmp_class_f64_e32 vcc, v[0:1], v3
	s_nop 1
	v_cndmask_b32_e32 v1, v5, v1, vcc
	v_cndmask_b32_e32 v0, v4, v0, vcc
	v_mul_f64 v[4:5], v[8:9], -0.5
	v_mul_f64 v[4:5], v[6:7], v[4:5]
	v_div_scale_f64 v[6:7], s[16:17], v[0:1], v[0:1], v[4:5]
	v_rcp_f64_e32 v[8:9], v[6:7]
	s_nop 0
	v_fma_f64 v[10:11], -v[6:7], v[8:9], 1.0
	v_fmac_f64_e32 v[8:9], v[8:9], v[10:11]
	v_fma_f64 v[10:11], -v[6:7], v[8:9], 1.0
	v_fmac_f64_e32 v[8:9], v[8:9], v[10:11]
	v_div_scale_f64 v[10:11], vcc, v[4:5], v[0:1], v[4:5]
	v_mul_f64 v[12:13], v[10:11], v[8:9]
	v_fma_f64 v[6:7], -v[6:7], v[12:13], v[10:11]
	s_nop 1
	v_div_fmas_f64 v[6:7], v[6:7], v[8:9], v[12:13]
	v_div_fixup_f64 v[0:1], v[6:7], v[0:1], v[4:5]
.LBB8_1211:
	s_or_b64 exec, exec, s[0:1]
.LBB8_1212:
	s_or_b64 exec, exec, s[10:11]
	s_lshl_b32 s9, s9, 7
	v_add_u32_e32 v2, s9, v2
	v_ashrrev_i32_e32 v3, 31, v2
	s_cmp_lt_i32 s22, 11
	v_lshl_add_u64 v[4:5], s[6:7], 0, v[2:3]
	s_cbranch_scc1 .LBB8_1219
; %bb.1213:
	s_cmp_gt_i32 s22, 25
	s_mov_b64 s[10:11], 0
	s_cbranch_scc0 .LBB8_1221
; %bb.1214:
	s_cmp_gt_i32 s22, 28
	s_cbranch_scc0 .LBB8_1222
; %bb.1215:
	s_cmp_gt_i32 s22, 43
	;; [unrolled: 3-line block ×3, first 2 shown]
	s_cbranch_scc0 .LBB8_1225
; %bb.1217:
	s_cmp_eq_u32 s22, 46
	s_mov_b64 s[18:19], 0
	s_cbranch_scc0 .LBB8_1228
; %bb.1218:
	global_load_dword v3, v[4:5], off
	s_mov_b64 s[0:1], 0
	s_mov_b64 s[16:17], -1
	s_waitcnt vmcnt(0)
	v_lshlrev_b32_e32 v3, 16, v3
	v_cvt_f64_f32_e32 v[6:7], v3
	s_branch .LBB8_1229
.LBB8_1219:
	s_mov_b64 s[16:17], 0
                                        ; implicit-def: $vgpr6_vgpr7
	s_cbranch_execnz .LBB8_1294
.LBB8_1220:
	s_andn2_b64 vcc, exec, s[16:17]
	s_cbranch_vccnz .LBB8_1714
	s_branch .LBB8_1341
.LBB8_1221:
	s_mov_b64 s[16:17], 0
	s_mov_b64 s[0:1], 0
                                        ; implicit-def: $vgpr6_vgpr7
	s_cbranch_execnz .LBB8_1260
	s_branch .LBB8_1290
.LBB8_1222:
	s_mov_b64 s[18:19], -1
	s_mov_b64 s[16:17], 0
	s_mov_b64 s[0:1], 0
                                        ; implicit-def: $vgpr6_vgpr7
	s_branch .LBB8_1239
.LBB8_1223:
	s_mov_b64 s[18:19], -1
	s_mov_b64 s[16:17], 0
	s_mov_b64 s[0:1], 0
                                        ; implicit-def: $vgpr6_vgpr7
	s_branch .LBB8_1234
.LBB8_1224:
	s_or_b64 s[14:15], s[12:13], exec
	s_trap 2
	s_cbranch_execz .LBB8_1153
	s_branch .LBB8_1154
.LBB8_1225:
	s_mov_b64 s[18:19], -1
	s_mov_b64 s[16:17], 0
	s_mov_b64 s[0:1], 0
                                        ; implicit-def: $vgpr6_vgpr7
	s_branch .LBB8_1229
.LBB8_1226:
	s_andn2_saveexec_b64 s[24:25], s[24:25]
	s_cbranch_execz .LBB8_996
.LBB8_1227:
	s_mov_b32 s28, 0x42800000
	v_add_f32_e64 v3, |v2|, s28
	v_and_b32_e32 v3, 0xff, v3
	v_cmp_ne_u32_e32 vcc, 0, v3
	s_andn2_b64 s[22:23], s[22:23], exec
	s_and_b64 s[28:29], vcc, exec
	s_or_b64 s[22:23], s[22:23], s[28:29]
	s_or_b64 exec, exec, s[24:25]
	v_mov_b32_e32 v6, 0
	s_and_saveexec_b64 s[24:25], s[22:23]
	s_cbranch_execnz .LBB8_997
	s_branch .LBB8_998
.LBB8_1228:
	s_mov_b64 s[0:1], -1
                                        ; implicit-def: $vgpr6_vgpr7
	s_mov_b64 s[16:17], 0
.LBB8_1229:
	s_and_b64 vcc, exec, s[18:19]
	s_cbranch_vccz .LBB8_1233
; %bb.1230:
	s_cmp_eq_u32 s22, 44
	s_cbranch_scc0 .LBB8_1232
; %bb.1231:
	global_load_ubyte v3, v[4:5], off
	s_movk_i32 s16, 0xff
	v_bfrev_b32_e32 v8, 4
	v_mov_b32_e32 v9, 0x7ff80000
	v_bfrev_b32_e32 v10, 28
	s_mov_b64 s[0:1], 0
	s_waitcnt vmcnt(0)
	v_lshlrev_b32_e32 v6, 23, v3
	v_cvt_f64_f32_e32 v[6:7], v6
	v_cmp_ne_u32_e32 vcc, s16, v3
	s_mov_b64 s[16:17], -1
	s_nop 0
	v_cndmask_b32_e32 v6, v8, v6, vcc
	v_cndmask_b32_e32 v7, v9, v7, vcc
	v_cmp_ne_u32_e32 vcc, 0, v3
	s_nop 1
	v_cndmask_b32_e32 v7, v10, v7, vcc
	v_cndmask_b32_e32 v6, 0, v6, vcc
	s_branch .LBB8_1233
.LBB8_1232:
	s_mov_b64 s[0:1], -1
                                        ; implicit-def: $vgpr6_vgpr7
.LBB8_1233:
	s_mov_b64 s[18:19], 0
.LBB8_1234:
	s_and_b64 vcc, exec, s[18:19]
	s_cbranch_vccz .LBB8_1238
; %bb.1235:
	s_cmp_eq_u32 s22, 29
	s_cbranch_scc0 .LBB8_1237
; %bb.1236:
	global_load_dwordx2 v[6:7], v[4:5], off
	s_mov_b64 s[0:1], 0
	s_mov_b64 s[16:17], -1
	s_mov_b64 s[18:19], 0
	s_waitcnt vmcnt(0)
	v_cvt_f64_u32_e32 v[8:9], v7
	v_cvt_f64_u32_e32 v[6:7], v6
	v_ldexp_f64 v[8:9], v[8:9], 32
	v_add_f64 v[6:7], v[8:9], v[6:7]
	s_branch .LBB8_1239
.LBB8_1237:
	s_mov_b64 s[0:1], -1
                                        ; implicit-def: $vgpr6_vgpr7
.LBB8_1238:
	s_mov_b64 s[18:19], 0
.LBB8_1239:
	s_and_b64 vcc, exec, s[18:19]
	s_cbranch_vccz .LBB8_1259
; %bb.1240:
	s_cmp_lt_i32 s22, 27
	s_cbranch_scc1 .LBB8_1243
; %bb.1241:
	s_cmp_gt_i32 s22, 27
	s_cbranch_scc0 .LBB8_1244
; %bb.1242:
	global_load_dword v3, v[4:5], off
	s_mov_b64 s[16:17], 0
	s_waitcnt vmcnt(0)
	v_cvt_f64_u32_e32 v[6:7], v3
	s_branch .LBB8_1245
.LBB8_1243:
	s_mov_b64 s[16:17], -1
                                        ; implicit-def: $vgpr6_vgpr7
	s_branch .LBB8_1248
.LBB8_1244:
	s_mov_b64 s[16:17], -1
                                        ; implicit-def: $vgpr6_vgpr7
.LBB8_1245:
	s_andn2_b64 vcc, exec, s[16:17]
	s_cbranch_vccnz .LBB8_1247
; %bb.1246:
	global_load_ushort v3, v[4:5], off
	s_waitcnt vmcnt(0)
	v_cvt_f64_u32_e32 v[6:7], v3
.LBB8_1247:
	s_mov_b64 s[16:17], 0
.LBB8_1248:
	s_andn2_b64 vcc, exec, s[16:17]
	s_cbranch_vccnz .LBB8_1258
; %bb.1249:
	global_load_ubyte v3, v[4:5], off
	s_movk_i32 s16, 0x7f
	s_waitcnt vmcnt(0)
	v_cmp_lt_i16_e32 vcc, s16, v3
	s_mov_b64 s[16:17], 0
	s_and_saveexec_b64 s[18:19], vcc
	s_xor_b64 s[18:19], exec, s[18:19]
	s_cbranch_execz .LBB8_1253
; %bb.1250:
	s_movk_i32 s16, 0x80
	v_cmp_eq_u16_e32 vcc, s16, v3
	s_mov_b64 s[16:17], -1
	s_and_saveexec_b64 s[20:21], vcc
; %bb.1251:
	s_xor_b64 s[16:17], exec, -1
; %bb.1252:
	s_or_b64 exec, exec, s[20:21]
	s_and_b64 s[16:17], s[16:17], exec
.LBB8_1253:
	s_or_saveexec_b64 s[18:19], s[18:19]
	v_bfrev_b32_e32 v6, 4
	v_mov_b32_e32 v7, 0x7ff80000
	s_xor_b64 exec, exec, s[18:19]
; %bb.1254:
	v_cmp_ne_u16_e32 vcc, 0, v3
	s_andn2_b64 s[16:17], s[16:17], exec
	s_and_b64 s[20:21], vcc, exec
	v_mov_b64_e32 v[6:7], 0
	s_or_b64 s[16:17], s[16:17], s[20:21]
; %bb.1255:
	s_or_b64 exec, exec, s[18:19]
	s_and_saveexec_b64 s[18:19], s[16:17]
	s_cbranch_execz .LBB8_1257
; %bb.1256:
	v_lshlrev_b32_e32 v6, 24, v3
	v_and_b32_e32 v3, 0xffff, v3
	v_and_b32_e32 v7, 7, v3
	v_ffbh_u32_e32 v9, v7
	v_min_u32_e32 v9, 32, v9
	v_subrev_u32_e32 v10, 28, v9
	v_bfe_u32 v8, v3, 3, 4
	v_lshlrev_b32_e32 v3, v10, v3
	v_sub_u32_e32 v9, 29, v9
	v_and_b32_e32 v3, 7, v3
	v_cmp_eq_u32_e32 vcc, 0, v8
	v_and_b32_e32 v6, 0x80000000, v6
	s_nop 0
	v_cndmask_b32_e32 v8, v8, v9, vcc
	v_cndmask_b32_e32 v3, v7, v3, vcc
	v_mov_b32_e32 v7, 0x3b800000
	v_lshlrev_b32_e32 v3, 20, v3
	v_lshl_add_u32 v7, v8, 23, v7
	v_or3_b32 v3, v6, v7, v3
	v_cvt_f64_f32_e32 v[6:7], v3
.LBB8_1257:
	s_or_b64 exec, exec, s[18:19]
.LBB8_1258:
	s_mov_b64 s[16:17], -1
.LBB8_1259:
	s_branch .LBB8_1290
.LBB8_1260:
	s_cmp_gt_i32 s22, 22
	s_cbranch_scc0 .LBB8_1272
; %bb.1261:
	s_cmp_lt_i32 s22, 24
	s_cbranch_scc1 .LBB8_1273
; %bb.1262:
	s_cmp_gt_i32 s22, 24
	s_cbranch_scc0 .LBB8_1274
; %bb.1263:
	global_load_ubyte v3, v[4:5], off
	s_movk_i32 s10, 0x7f
	s_waitcnt vmcnt(0)
	v_cmp_lt_i16_e32 vcc, s10, v3
	s_mov_b64 s[10:11], 0
	s_and_saveexec_b64 s[16:17], vcc
	s_xor_b64 s[16:17], exec, s[16:17]
	s_cbranch_execz .LBB8_1267
; %bb.1264:
	s_movk_i32 s10, 0x80
	v_cmp_eq_u16_e32 vcc, s10, v3
	s_mov_b64 s[10:11], -1
	s_and_saveexec_b64 s[18:19], vcc
; %bb.1265:
	s_xor_b64 s[10:11], exec, -1
; %bb.1266:
	s_or_b64 exec, exec, s[18:19]
	s_and_b64 s[10:11], s[10:11], exec
.LBB8_1267:
	s_or_saveexec_b64 s[16:17], s[16:17]
	v_bfrev_b32_e32 v6, 4
	v_mov_b32_e32 v7, 0x7ff80000
	s_xor_b64 exec, exec, s[16:17]
; %bb.1268:
	v_cmp_ne_u16_e32 vcc, 0, v3
	s_andn2_b64 s[10:11], s[10:11], exec
	s_and_b64 s[18:19], vcc, exec
	v_mov_b64_e32 v[6:7], 0
	s_or_b64 s[10:11], s[10:11], s[18:19]
; %bb.1269:
	s_or_b64 exec, exec, s[16:17]
	s_and_saveexec_b64 s[16:17], s[10:11]
	s_cbranch_execz .LBB8_1271
; %bb.1270:
	v_lshlrev_b32_e32 v6, 24, v3
	v_and_b32_e32 v3, 0xffff, v3
	v_and_b32_e32 v7, 3, v3
	v_ffbh_u32_e32 v9, v7
	v_min_u32_e32 v9, 32, v9
	v_subrev_u32_e32 v10, 29, v9
	v_bfe_u32 v8, v3, 2, 5
	v_lshlrev_b32_e32 v3, v10, v3
	v_sub_u32_e32 v9, 30, v9
	v_and_b32_e32 v3, 3, v3
	v_cmp_eq_u32_e32 vcc, 0, v8
	v_and_b32_e32 v6, 0x80000000, v6
	s_nop 0
	v_cndmask_b32_e32 v8, v8, v9, vcc
	v_cndmask_b32_e32 v3, v7, v3, vcc
	v_mov_b32_e32 v7, 0x37800000
	v_lshlrev_b32_e32 v3, 21, v3
	v_lshl_add_u32 v7, v8, 23, v7
	v_or3_b32 v3, v6, v7, v3
	v_cvt_f64_f32_e32 v[6:7], v3
.LBB8_1271:
	s_or_b64 exec, exec, s[16:17]
	s_mov_b64 s[10:11], 0
	s_branch .LBB8_1275
.LBB8_1272:
	s_mov_b64 s[10:11], -1
                                        ; implicit-def: $vgpr6_vgpr7
	s_branch .LBB8_1281
.LBB8_1273:
	s_mov_b64 s[10:11], -1
                                        ; implicit-def: $vgpr6_vgpr7
	s_branch .LBB8_1278
.LBB8_1274:
	s_mov_b64 s[10:11], -1
                                        ; implicit-def: $vgpr6_vgpr7
.LBB8_1275:
	s_and_b64 vcc, exec, s[10:11]
	s_cbranch_vccz .LBB8_1277
; %bb.1276:
	global_load_ubyte v3, v[4:5], off
	s_mov_b32 s10, 0x7f800000
	s_waitcnt vmcnt(0)
	v_lshlrev_b32_e32 v3, 24, v3
	v_and_b32_e32 v6, 0x7f000000, v3
	v_ffbh_u32_e32 v7, v6
	v_min_u32_e32 v7, 32, v7
	v_sub_u32_e64 v7, v7, 4 clamp
	v_lshlrev_b32_e32 v9, v7, v6
	v_lshlrev_b32_e32 v7, 23, v7
	v_lshrrev_b32_e32 v9, 4, v9
	v_add_u32_e32 v8, 0x1000000, v6
	v_sub_u32_e32 v7, v9, v7
	v_ashrrev_i32_e32 v8, 8, v8
	v_add_u32_e32 v7, 0x3c000000, v7
	v_and_or_b32 v7, v8, s10, v7
	v_cmp_ne_u32_e32 vcc, 0, v6
	s_brev_b32 s10, 1
	s_nop 0
	v_cndmask_b32_e32 v6, 0, v7, vcc
	v_and_or_b32 v3, v3, s10, v6
	v_cvt_f64_f32_e32 v[6:7], v3
.LBB8_1277:
	s_mov_b64 s[10:11], 0
.LBB8_1278:
	s_andn2_b64 vcc, exec, s[10:11]
	s_cbranch_vccnz .LBB8_1280
; %bb.1279:
	global_load_ubyte v3, v[4:5], off
	s_movk_i32 s10, 0x7f00
	s_brev_b32 s11, 16
	s_waitcnt vmcnt(0)
	v_lshlrev_b16_e32 v6, 8, v3
	v_lshlrev_b32_e32 v3, 25, v3
	v_lshrrev_b32_e32 v7, 4, v3
	v_and_or_b32 v8, v6, s10, 0.5
	v_or_b32_e32 v7, 0x70000000, v7
	v_add_f32_e32 v8, -0.5, v8
	v_mul_f32_e32 v7, 0x7800000, v7
	v_cmp_gt_u32_e32 vcc, s11, v3
	v_bfe_i32 v6, v6, 0, 16
	s_brev_b32 s10, 1
	v_cndmask_b32_e32 v3, v7, v8, vcc
	v_and_or_b32 v3, v6, s10, v3
	v_cvt_f64_f32_e32 v[6:7], v3
.LBB8_1280:
	s_mov_b64 s[10:11], 0
	s_mov_b64 s[16:17], -1
.LBB8_1281:
	s_andn2_b64 vcc, exec, s[10:11]
	s_mov_b64 s[10:11], 0
	s_cbranch_vccnz .LBB8_1290
; %bb.1282:
	s_cmp_gt_i32 s22, 14
	s_cbranch_scc0 .LBB8_1285
; %bb.1283:
	s_cmp_eq_u32 s22, 15
	s_cbranch_scc0 .LBB8_1286
; %bb.1284:
	global_load_ushort v3, v[4:5], off
	s_mov_b64 s[0:1], 0
	s_mov_b64 s[16:17], -1
	s_waitcnt vmcnt(0)
	v_lshlrev_b32_e32 v3, 16, v3
	v_cvt_f64_f32_e32 v[6:7], v3
	s_branch .LBB8_1287
.LBB8_1285:
	s_mov_b64 s[18:19], -1
                                        ; implicit-def: $vgpr6_vgpr7
	s_branch .LBB8_1288
.LBB8_1286:
	s_mov_b64 s[0:1], -1
                                        ; implicit-def: $vgpr6_vgpr7
.LBB8_1287:
	s_mov_b64 s[18:19], 0
.LBB8_1288:
	s_and_b64 vcc, exec, s[18:19]
	s_cbranch_vccz .LBB8_1290
; %bb.1289:
	s_cmp_lg_u32 s22, 11
	s_mov_b64 s[10:11], -1
	s_cselect_b64 s[0:1], -1, 0
.LBB8_1290:
	s_and_b64 vcc, exec, s[0:1]
	s_cbranch_vccnz .LBB8_1365
; %bb.1291:
	s_andn2_b64 vcc, exec, s[10:11]
	s_cbranch_vccnz .LBB8_1293
.LBB8_1292:
	global_load_ubyte v3, v[4:5], off
	v_mov_b32_e32 v7, 0x3ff00000
	v_mov_b32_e32 v6, 0
	s_mov_b64 s[16:17], -1
	s_waitcnt vmcnt(0)
	v_cmp_ne_u16_e32 vcc, 0, v3
	s_nop 1
	v_cndmask_b32_e32 v7, 0, v7, vcc
.LBB8_1293:
	s_branch .LBB8_1220
.LBB8_1294:
	s_cmp_lt_i32 s22, 5
	s_cbranch_scc1 .LBB8_1299
; %bb.1295:
	s_cmp_lt_i32 s22, 8
	s_cbranch_scc1 .LBB8_1300
; %bb.1296:
	;; [unrolled: 3-line block ×3, first 2 shown]
	s_cmp_gt_i32 s22, 9
	s_cbranch_scc0 .LBB8_1302
; %bb.1298:
	global_load_dwordx2 v[6:7], v[4:5], off
	s_mov_b64 s[0:1], 0
	s_branch .LBB8_1303
.LBB8_1299:
                                        ; implicit-def: $vgpr6_vgpr7
	s_branch .LBB8_1321
.LBB8_1300:
	s_mov_b64 s[0:1], -1
                                        ; implicit-def: $vgpr6_vgpr7
	s_branch .LBB8_1309
.LBB8_1301:
	s_mov_b64 s[0:1], -1
                                        ; implicit-def: $vgpr6_vgpr7
	s_branch .LBB8_1306
.LBB8_1302:
	s_mov_b64 s[0:1], -1
                                        ; implicit-def: $vgpr6_vgpr7
.LBB8_1303:
	s_andn2_b64 vcc, exec, s[0:1]
	s_cbranch_vccnz .LBB8_1305
; %bb.1304:
	global_load_dword v3, v[4:5], off
	s_waitcnt vmcnt(0)
	v_cvt_f64_f32_e32 v[6:7], v3
.LBB8_1305:
	s_mov_b64 s[0:1], 0
.LBB8_1306:
	s_andn2_b64 vcc, exec, s[0:1]
	s_cbranch_vccnz .LBB8_1308
; %bb.1307:
	global_load_dword v3, v[4:5], off
	s_waitcnt vmcnt(0)
	v_cvt_f32_f16_e32 v3, v3
	v_cvt_f64_f32_e32 v[6:7], v3
.LBB8_1308:
	s_mov_b64 s[0:1], 0
.LBB8_1309:
	s_andn2_b64 vcc, exec, s[0:1]
	s_cbranch_vccnz .LBB8_1320
; %bb.1310:
	s_cmp_lt_i32 s22, 6
	s_cbranch_scc1 .LBB8_1313
; %bb.1311:
	s_cmp_gt_i32 s22, 6
	s_cbranch_scc0 .LBB8_1314
; %bb.1312:
	global_load_dwordx2 v[6:7], v[4:5], off
	s_mov_b64 s[0:1], 0
	s_branch .LBB8_1315
.LBB8_1313:
	s_mov_b64 s[0:1], -1
                                        ; implicit-def: $vgpr6_vgpr7
	s_branch .LBB8_1318
.LBB8_1314:
	s_mov_b64 s[0:1], -1
                                        ; implicit-def: $vgpr6_vgpr7
.LBB8_1315:
	s_andn2_b64 vcc, exec, s[0:1]
	s_cbranch_vccnz .LBB8_1317
; %bb.1316:
	global_load_dword v3, v[4:5], off
	s_waitcnt vmcnt(0)
	v_cvt_f64_f32_e32 v[6:7], v3
.LBB8_1317:
	s_mov_b64 s[0:1], 0
.LBB8_1318:
	s_andn2_b64 vcc, exec, s[0:1]
	s_cbranch_vccnz .LBB8_1320
; %bb.1319:
	global_load_ushort v3, v[4:5], off
	s_waitcnt vmcnt(0)
	v_cvt_f32_f16_e32 v3, v3
	v_cvt_f64_f32_e32 v[6:7], v3
.LBB8_1320:
	s_cbranch_execnz .LBB8_1340
.LBB8_1321:
	s_cmp_lt_i32 s22, 2
	s_cbranch_scc1 .LBB8_1325
; %bb.1322:
	s_cmp_lt_i32 s22, 3
	s_cbranch_scc1 .LBB8_1326
; %bb.1323:
	s_cmp_gt_i32 s22, 3
	s_cbranch_scc0 .LBB8_1327
; %bb.1324:
	global_load_dwordx2 v[6:7], v[4:5], off
	s_mov_b64 s[0:1], 0
	s_waitcnt vmcnt(0)
	v_cvt_f64_i32_e32 v[8:9], v7
	v_cvt_f64_u32_e32 v[6:7], v6
	v_ldexp_f64 v[8:9], v[8:9], 32
	v_add_f64 v[6:7], v[8:9], v[6:7]
	s_branch .LBB8_1328
.LBB8_1325:
	s_mov_b64 s[0:1], -1
                                        ; implicit-def: $vgpr6_vgpr7
	s_branch .LBB8_1334
.LBB8_1326:
	s_mov_b64 s[0:1], -1
                                        ; implicit-def: $vgpr6_vgpr7
	s_branch .LBB8_1331
.LBB8_1327:
	s_mov_b64 s[0:1], -1
                                        ; implicit-def: $vgpr6_vgpr7
.LBB8_1328:
	s_andn2_b64 vcc, exec, s[0:1]
	s_cbranch_vccnz .LBB8_1330
; %bb.1329:
	global_load_dword v3, v[4:5], off
	s_waitcnt vmcnt(0)
	v_cvt_f64_i32_e32 v[6:7], v3
.LBB8_1330:
	s_mov_b64 s[0:1], 0
.LBB8_1331:
	s_andn2_b64 vcc, exec, s[0:1]
	s_cbranch_vccnz .LBB8_1333
; %bb.1332:
	global_load_sshort v3, v[4:5], off
	s_waitcnt vmcnt(0)
	v_cvt_f64_i32_e32 v[6:7], v3
.LBB8_1333:
	s_mov_b64 s[0:1], 0
.LBB8_1334:
	s_andn2_b64 vcc, exec, s[0:1]
	s_cbranch_vccnz .LBB8_1340
; %bb.1335:
	s_cmp_gt_i32 s22, 0
	s_cbranch_scc0 .LBB8_1337
; %bb.1336:
	global_load_sbyte v3, v[4:5], off
	s_mov_b64 s[0:1], 0
	s_waitcnt vmcnt(0)
	v_cvt_f64_i32_e32 v[6:7], v3
	s_branch .LBB8_1338
.LBB8_1337:
	s_mov_b64 s[0:1], -1
                                        ; implicit-def: $vgpr6_vgpr7
.LBB8_1338:
	s_andn2_b64 vcc, exec, s[0:1]
	s_cbranch_vccnz .LBB8_1340
; %bb.1339:
	global_load_ubyte v3, v[4:5], off
	s_waitcnt vmcnt(0)
	v_cvt_f64_u32_e32 v[6:7], v3
.LBB8_1340:
.LBB8_1341:
	s_mov_b32 s0, 0
	s_mov_b32 s1, 0x40200000
	s_waitcnt vmcnt(0)
	v_cmp_le_f64_e64 s[0:1], |v[6:7]|, s[0:1]
                                        ; implicit-def: $vgpr4_vgpr5
	s_and_saveexec_b64 s[10:11], s[0:1]
	s_xor_b64 s[0:1], exec, s[10:11]
	s_cbranch_execz .LBB8_1347
; %bb.1342:
	s_mov_b32 s10, 0xc3c4014
	v_fma_f64 v[4:5], |v[6:7]|, 0.5, -2.0
	v_mov_b32_e32 v8, 0xc38a0576
	v_mov_b32_e32 v9, 0xbc7857d0
	s_mov_b32 s11, 0x3c499f2a
	v_fmac_f64_e32 v[8:9], s[10:11], v[4:5]
	v_mov_b32_e32 v10, 0xc3c4014
	v_mov_b32_e32 v11, 0xbc499f2a
	s_mov_b32 s10, 0xe593bfac
	v_fmac_f64_e32 v[10:11], v[4:5], v[8:9]
	s_mov_b32 s11, 0x3ca663e3
	v_add_f64 v[10:11], v[10:11], s[10:11]
	s_mov_b32 s10, 0x7e0d1573
	v_fma_f64 v[8:9], v[4:5], v[10:11], -v[8:9]
	s_mov_b32 s11, 0xbcd3eaaa
	v_add_f64 v[8:9], v[8:9], s[10:11]
	s_mov_b32 s10, 0x615290c
	v_fma_f64 v[10:11], v[4:5], v[8:9], -v[10:11]
	;; [unrolled: 4-line block ×26, first 2 shown]
	s_mov_b32 s11, 0x3fd02a63
	v_add_f64 v[4:5], v[4:5], s[10:11]
	v_add_f64 v[4:5], v[4:5], -v[10:11]
	s_mov_b32 s10, 0x652b82fe
	v_mul_f64 v[4:5], v[4:5], 0.5
	s_mov_b32 s11, 0x3ff71547
	v_mul_f64 v[8:9], |v[6:7]|, v[4:5]
	v_mul_f64 v[4:5], |v[6:7]|, s[10:11]
	s_mov_b32 s10, 0xfefa39ef
	v_rndne_f64_e32 v[4:5], v[4:5]
	s_mov_b32 s11, 0xbfe62e42
	v_fma_f64 v[10:11], v[4:5], s[10:11], |v[6:7]|
	s_mov_b32 s10, 0x3b39803f
	s_mov_b32 s11, 0xbc7abc9e
	v_fmac_f64_e32 v[10:11], s[10:11], v[4:5]
	s_mov_b32 s10, 0x6a5dcb37
	v_mov_b32_e32 v12, 0xfca7ab0c
	v_mov_b32_e32 v13, 0x3e928af3
	s_mov_b32 s11, 0x3e5ade15
	v_fmac_f64_e32 v[12:13], s[10:11], v[10:11]
	v_mov_b32_e32 v16, 0x623fde64
	v_mov_b32_e32 v17, 0x3ec71dee
	v_fmac_f64_e32 v[16:17], v[10:11], v[12:13]
	v_mov_b32_e32 v12, 0x7c89e6b0
	v_mov_b32_e32 v13, 0x3efa0199
	;; [unrolled: 3-line block ×8, first 2 shown]
	v_fmac_f64_e32 v[12:13], v[10:11], v[16:17]
	v_fma_f64 v[12:13], v[10:11], v[12:13], 1.0
	v_cmp_ngt_f64_e32 vcc, 0, v[6:7]
	v_fma_f64 v[10:11], v[10:11], v[12:13], 1.0
	v_cvt_i32_f64_e32 v3, v[4:5]
                                        ; implicit-def: $vgpr4_vgpr5
	s_and_saveexec_b64 s[10:11], vcc
	s_xor_b64 s[10:11], exec, s[10:11]
; %bb.1343:
	s_mov_b32 s16, 0
	s_mov_b32 s17, 0x40900000
	v_ldexp_f64 v[4:5], v[10:11], v3
	v_mov_b32_e32 v3, 0x7ff00000
	v_cmp_ngt_f64_e64 vcc, |v[6:7]|, s[16:17]
                                        ; implicit-def: $vgpr10_vgpr11
                                        ; implicit-def: $vgpr6_vgpr7
	s_nop 1
	v_cndmask_b32_e32 v5, v3, v5, vcc
	v_cndmask_b32_e32 v4, 0, v4, vcc
	v_mul_f64 v[4:5], v[4:5], v[8:9]
                                        ; implicit-def: $vgpr3
                                        ; implicit-def: $vgpr8_vgpr9
; %bb.1344:
	s_andn2_saveexec_b64 s[10:11], s[10:11]
; %bb.1345:
	s_mov_b32 s16, 0
	s_mov_b32 s17, 0x40900000
	v_ldexp_f64 v[4:5], -v[10:11], v3
	v_mov_b32_e32 v3, 0xfff00000
	v_cmp_ngt_f64_e64 vcc, |v[6:7]|, s[16:17]
	s_nop 1
	v_cndmask_b32_e32 v5, v3, v5, vcc
	v_cndmask_b32_e32 v4, 0, v4, vcc
	v_mul_f64 v[4:5], v[4:5], v[8:9]
; %bb.1346:
	s_or_b64 exec, exec, s[10:11]
                                        ; implicit-def: $vgpr6_vgpr7
.LBB8_1347:
	s_andn2_saveexec_b64 s[10:11], s[0:1]
	s_cbranch_execz .LBB8_1353
; %bb.1348:
	s_mov_b32 s0, 0
	v_and_b32_e32 v5, 0x7fffffff, v7
	v_mov_b32_e32 v4, v6
	s_mov_b32 s1, 0x40400000
	v_div_scale_f64 v[8:9], s[16:17], v[4:5], v[4:5], s[0:1]
	v_rcp_f64_e32 v[10:11], v[8:9]
	v_div_scale_f64 v[4:5], vcc, s[0:1], v[4:5], s[0:1]
	v_mov_b32_e32 v16, 0xfca7ab0c
	v_fma_f64 v[12:13], -v[8:9], v[10:11], 1.0
	v_fmac_f64_e32 v[10:11], v[10:11], v[12:13]
	v_fma_f64 v[12:13], -v[8:9], v[10:11], 1.0
	v_fmac_f64_e32 v[10:11], v[10:11], v[12:13]
	v_mul_f64 v[12:13], v[4:5], v[10:11]
	v_fma_f64 v[4:5], -v[8:9], v[12:13], v[4:5]
	v_div_fmas_f64 v[4:5], v[4:5], v[10:11], v[12:13]
	v_div_fixup_f64 v[4:5], v[4:5], |v[6:7]|, s[0:1]
	s_mov_b32 s0, 0xb352e8e6
	v_add_f64 v[4:5], v[4:5], -2.0
	v_mov_b32_e32 v8, 0xea87b950
	v_mov_b32_e32 v9, 0x3c545b8a
	s_mov_b32 s1, 0x3c61556d
	v_fmac_f64_e32 v[8:9], s[0:1], v[4:5]
	v_mov_b32_e32 v10, 0xb352e8e6
	v_mov_b32_e32 v11, 0xbc61556d
	s_mov_b32 s0, 0xb2532277
	v_fmac_f64_e32 v[10:11], v[4:5], v[8:9]
	s_mov_b32 s1, 0xbc8acea3
	v_add_f64 v[10:11], v[10:11], s[0:1]
	s_mov_b32 s0, 0x9c773320
	v_fma_f64 v[8:9], v[4:5], v[10:11], -v[8:9]
	s_mov_b32 s1, 0xbc82806c
	v_add_f64 v[8:9], v[8:9], s[0:1]
	s_mov_b32 s0, 0xfceb588a
	v_fma_f64 v[10:11], v[4:5], v[8:9], -v[10:11]
	;; [unrolled: 4-line block ×22, first 2 shown]
	s_mov_b32 s1, 0x3fe8ea18
	v_add_f64 v[4:5], v[4:5], s[0:1]
	s_mov_b32 s0, 0x652b82fe
	s_mov_b32 s1, 0x3ff71547
	v_mul_f64 v[8:9], |v[6:7]|, s[0:1]
	s_mov_b32 s0, 0xfefa39ef
	v_rndne_f64_e32 v[8:9], v[8:9]
	s_mov_b32 s1, 0xbfe62e42
	v_fma_f64 v[12:13], v[8:9], s[0:1], |v[6:7]|
	s_mov_b32 s0, 0x3b39803f
	s_mov_b32 s1, 0xbc7abc9e
	v_fmac_f64_e32 v[12:13], s[0:1], v[8:9]
	s_mov_b32 s0, 0x6a5dcb37
	v_mov_b32_e32 v17, 0x3e928af3
	s_mov_b32 s1, 0x3e5ade15
	v_fmac_f64_e32 v[16:17], s[0:1], v[12:13]
	v_mov_b32_e32 v18, 0x623fde64
	v_mov_b32_e32 v19, 0x3ec71dee
	v_fmac_f64_e32 v[18:19], v[12:13], v[16:17]
	v_mov_b32_e32 v16, 0x7c89e6b0
	v_mov_b32_e32 v17, 0x3efa0199
	v_fmac_f64_e32 v[16:17], v[12:13], v[18:19]
	v_mov_b32_e32 v18, 0x14761f6e
	v_mov_b32_e32 v19, 0x3f2a01a0
	v_fmac_f64_e32 v[18:19], v[12:13], v[16:17]
	v_mov_b32_e32 v16, 0x1852b7b0
	v_mov_b32_e32 v17, 0x3f56c16c
	v_fmac_f64_e32 v[16:17], v[12:13], v[18:19]
	v_mov_b32_e32 v18, 0x11122322
	v_mov_b32_e32 v19, 0x3f811111
	v_fmac_f64_e32 v[18:19], v[12:13], v[16:17]
	v_mov_b32_e32 v16, 0x555502a1
	v_mov_b32_e32 v17, 0x3fa55555
	v_fmac_f64_e32 v[16:17], v[12:13], v[18:19]
	v_mov_b32_e32 v18, 0x55555511
	v_mov_b32_e32 v19, 0x3fc55555
	v_fmac_f64_e32 v[18:19], v[12:13], v[16:17]
	v_mov_b32_e32 v16, 11
	v_mov_b32_e32 v17, 0x3fe00000
	v_fmac_f64_e32 v[16:17], v[12:13], v[18:19]
	v_fma_f64 v[16:17], v[12:13], v[16:17], 1.0
	s_mov_b32 s0, 0
	v_fma_f64 v[12:13], v[12:13], v[16:17], 1.0
	v_cvt_i32_f64_e32 v3, v[8:9]
	s_mov_b32 s1, 0x40900000
	v_ldexp_f64 v[8:9], v[12:13], v3
	v_mov_b32_e32 v3, 0x7ff00000
	v_cmp_ngt_f64_e64 s[0:1], |v[6:7]|, s[0:1]
	v_cmp_ngt_f64_e32 vcc, 0, v[6:7]
	v_add_f64 v[10:11], v[4:5], -v[10:11]
	v_cndmask_b32_e64 v9, v3, v9, s[0:1]
	v_cndmask_b32_e64 v8, 0, v8, s[0:1]
                                        ; implicit-def: $vgpr4_vgpr5
	s_and_saveexec_b64 s[0:1], vcc
	s_xor_b64 s[0:1], exec, s[0:1]
	s_cbranch_execz .LBB8_1350
; %bb.1349:
	s_mov_b32 s16, 0
	s_brev_b32 s17, 8
	v_mov_b32_e32 v3, 0x100
	v_cmp_lt_f64_e64 vcc, |v[6:7]|, s[16:17]
	v_mul_f64 v[10:11], v[10:11], 0.5
	v_mul_f64 v[8:9], v[8:9], v[10:11]
	v_cndmask_b32_e32 v3, 0, v3, vcc
	v_ldexp_f64 v[4:5], |v[6:7]|, v3
	v_rsq_f64_e32 v[6:7], v[4:5]
	v_mov_b32_e32 v3, 0xffffff80
	v_cndmask_b32_e32 v3, 0, v3, vcc
	v_mul_f64 v[10:11], v[4:5], v[6:7]
	v_mul_f64 v[6:7], v[6:7], 0.5
	v_fma_f64 v[12:13], -v[6:7], v[10:11], 0.5
	v_fmac_f64_e32 v[10:11], v[10:11], v[12:13]
	v_fma_f64 v[16:17], -v[10:11], v[10:11], v[4:5]
	v_fmac_f64_e32 v[6:7], v[6:7], v[12:13]
	v_fmac_f64_e32 v[10:11], v[16:17], v[6:7]
	v_fma_f64 v[12:13], -v[10:11], v[10:11], v[4:5]
	v_fmac_f64_e32 v[10:11], v[12:13], v[6:7]
	v_ldexp_f64 v[6:7], v[10:11], v3
	v_mov_b32_e32 v3, 0x260
	v_cmp_class_f64_e32 vcc, v[4:5], v3
	s_nop 1
	v_cndmask_b32_e32 v5, v7, v5, vcc
	v_cndmask_b32_e32 v4, v6, v4, vcc
	v_div_scale_f64 v[6:7], s[16:17], v[4:5], v[4:5], v[8:9]
	v_rcp_f64_e32 v[10:11], v[6:7]
	s_nop 0
	v_fma_f64 v[12:13], -v[6:7], v[10:11], 1.0
	v_fmac_f64_e32 v[10:11], v[10:11], v[12:13]
	v_fma_f64 v[12:13], -v[6:7], v[10:11], 1.0
	v_fmac_f64_e32 v[10:11], v[10:11], v[12:13]
	v_div_scale_f64 v[12:13], vcc, v[8:9], v[4:5], v[8:9]
	v_mul_f64 v[16:17], v[12:13], v[10:11]
	v_fma_f64 v[6:7], -v[6:7], v[16:17], v[12:13]
	s_nop 1
	v_div_fmas_f64 v[6:7], v[6:7], v[10:11], v[16:17]
	v_div_fixup_f64 v[4:5], v[6:7], v[4:5], v[8:9]
                                        ; implicit-def: $vgpr6_vgpr7
                                        ; implicit-def: $vgpr10_vgpr11
                                        ; implicit-def: $vgpr8_vgpr9
.LBB8_1350:
	s_andn2_saveexec_b64 s[0:1], s[0:1]
	s_cbranch_execz .LBB8_1352
; %bb.1351:
	s_mov_b32 s16, 0
	s_brev_b32 s17, 8
	v_mov_b32_e32 v3, 0x100
	v_cmp_lt_f64_e64 vcc, |v[6:7]|, s[16:17]
	s_nop 1
	v_cndmask_b32_e32 v3, 0, v3, vcc
	v_ldexp_f64 v[4:5], |v[6:7]|, v3
	v_rsq_f64_e32 v[6:7], v[4:5]
	v_mov_b32_e32 v3, 0xffffff80
	v_cndmask_b32_e32 v3, 0, v3, vcc
	v_mul_f64 v[12:13], v[4:5], v[6:7]
	v_mul_f64 v[6:7], v[6:7], 0.5
	v_fma_f64 v[16:17], -v[6:7], v[12:13], 0.5
	v_fmac_f64_e32 v[12:13], v[12:13], v[16:17]
	v_fma_f64 v[18:19], -v[12:13], v[12:13], v[4:5]
	v_fmac_f64_e32 v[6:7], v[6:7], v[16:17]
	v_fmac_f64_e32 v[12:13], v[18:19], v[6:7]
	v_fma_f64 v[16:17], -v[12:13], v[12:13], v[4:5]
	v_fmac_f64_e32 v[12:13], v[16:17], v[6:7]
	v_ldexp_f64 v[6:7], v[12:13], v3
	v_mov_b32_e32 v3, 0x260
	v_cmp_class_f64_e32 vcc, v[4:5], v3
	s_nop 1
	v_cndmask_b32_e32 v5, v7, v5, vcc
	v_cndmask_b32_e32 v4, v6, v4, vcc
	v_mul_f64 v[6:7], v[10:11], -0.5
	v_mul_f64 v[6:7], v[8:9], v[6:7]
	v_div_scale_f64 v[8:9], s[16:17], v[4:5], v[4:5], v[6:7]
	v_rcp_f64_e32 v[10:11], v[8:9]
	s_nop 0
	v_fma_f64 v[12:13], -v[8:9], v[10:11], 1.0
	v_fmac_f64_e32 v[10:11], v[10:11], v[12:13]
	v_fma_f64 v[12:13], -v[8:9], v[10:11], 1.0
	v_fmac_f64_e32 v[10:11], v[10:11], v[12:13]
	v_div_scale_f64 v[12:13], vcc, v[6:7], v[4:5], v[6:7]
	v_mul_f64 v[16:17], v[12:13], v[10:11]
	v_fma_f64 v[8:9], -v[8:9], v[16:17], v[12:13]
	s_nop 1
	v_div_fmas_f64 v[8:9], v[8:9], v[10:11], v[16:17]
	v_div_fixup_f64 v[4:5], v[8:9], v[4:5], v[6:7]
.LBB8_1352:
	s_or_b64 exec, exec, s[0:1]
.LBB8_1353:
	s_or_b64 exec, exec, s[10:11]
	v_add_u32_e32 v2, s9, v2
	v_ashrrev_i32_e32 v3, 31, v2
	s_cmp_lt_i32 s22, 11
	v_lshl_add_u64 v[8:9], s[6:7], 0, v[2:3]
	s_cbranch_scc1 .LBB8_1360
; %bb.1354:
	s_cmp_gt_i32 s22, 25
	s_mov_b64 s[10:11], 0
	s_cbranch_scc0 .LBB8_1362
; %bb.1355:
	s_cmp_gt_i32 s22, 28
	s_cbranch_scc0 .LBB8_1363
; %bb.1356:
	s_cmp_gt_i32 s22, 43
	;; [unrolled: 3-line block ×3, first 2 shown]
	s_cbranch_scc0 .LBB8_1366
; %bb.1358:
	s_cmp_eq_u32 s22, 46
	s_mov_b64 s[18:19], 0
	s_cbranch_scc0 .LBB8_1367
; %bb.1359:
	global_load_dword v3, v[8:9], off
	s_mov_b64 s[0:1], 0
	s_mov_b64 s[16:17], -1
	s_waitcnt vmcnt(0)
	v_lshlrev_b32_e32 v3, 16, v3
	v_cvt_f64_f32_e32 v[6:7], v3
	s_branch .LBB8_1368
.LBB8_1360:
	s_mov_b64 s[16:17], 0
                                        ; implicit-def: $vgpr6_vgpr7
	s_cbranch_execnz .LBB8_1434
.LBB8_1361:
	s_andn2_b64 vcc, exec, s[16:17]
	s_cbranch_vccnz .LBB8_1714
	s_branch .LBB8_1482
.LBB8_1362:
	s_mov_b64 s[18:19], -1
	s_mov_b64 s[16:17], 0
	s_mov_b64 s[0:1], 0
                                        ; implicit-def: $vgpr6_vgpr7
	s_branch .LBB8_1399
.LBB8_1363:
	s_mov_b64 s[18:19], -1
	s_mov_b64 s[16:17], 0
	s_mov_b64 s[0:1], 0
                                        ; implicit-def: $vgpr6_vgpr7
	s_branch .LBB8_1378
.LBB8_1364:
	s_mov_b64 s[18:19], -1
	s_mov_b64 s[16:17], 0
	s_mov_b64 s[0:1], 0
                                        ; implicit-def: $vgpr6_vgpr7
	s_branch .LBB8_1373
.LBB8_1365:
	s_trap 2
	s_or_b64 s[14:15], s[14:15], exec
	s_cbranch_execz .LBB8_1292
	s_branch .LBB8_1293
.LBB8_1366:
	s_mov_b64 s[18:19], -1
	s_mov_b64 s[16:17], 0
	s_mov_b64 s[0:1], 0
                                        ; implicit-def: $vgpr6_vgpr7
	s_branch .LBB8_1368
.LBB8_1367:
	s_mov_b64 s[0:1], -1
                                        ; implicit-def: $vgpr6_vgpr7
	s_mov_b64 s[16:17], 0
.LBB8_1368:
	s_and_b64 vcc, exec, s[18:19]
	s_cbranch_vccz .LBB8_1372
; %bb.1369:
	s_cmp_eq_u32 s22, 44
	s_cbranch_scc0 .LBB8_1371
; %bb.1370:
	global_load_ubyte v3, v[8:9], off
	s_movk_i32 s16, 0xff
	v_bfrev_b32_e32 v10, 4
	v_mov_b32_e32 v11, 0x7ff80000
	v_bfrev_b32_e32 v12, 28
	s_mov_b64 s[0:1], 0
	s_waitcnt vmcnt(0)
	v_lshlrev_b32_e32 v6, 23, v3
	v_cvt_f64_f32_e32 v[6:7], v6
	v_cmp_ne_u32_e32 vcc, s16, v3
	s_mov_b64 s[16:17], -1
	s_nop 0
	v_cndmask_b32_e32 v6, v10, v6, vcc
	v_cndmask_b32_e32 v7, v11, v7, vcc
	v_cmp_ne_u32_e32 vcc, 0, v3
	s_nop 1
	v_cndmask_b32_e32 v7, v12, v7, vcc
	v_cndmask_b32_e32 v6, 0, v6, vcc
	s_branch .LBB8_1372
.LBB8_1371:
	s_mov_b64 s[0:1], -1
                                        ; implicit-def: $vgpr6_vgpr7
.LBB8_1372:
	s_mov_b64 s[18:19], 0
.LBB8_1373:
	s_and_b64 vcc, exec, s[18:19]
	s_cbranch_vccz .LBB8_1377
; %bb.1374:
	s_cmp_eq_u32 s22, 29
	s_cbranch_scc0 .LBB8_1376
; %bb.1375:
	global_load_dwordx2 v[6:7], v[8:9], off
	s_mov_b64 s[0:1], 0
	s_mov_b64 s[16:17], -1
	s_mov_b64 s[18:19], 0
	s_waitcnt vmcnt(0)
	v_cvt_f64_u32_e32 v[10:11], v7
	v_cvt_f64_u32_e32 v[6:7], v6
	v_ldexp_f64 v[10:11], v[10:11], 32
	v_add_f64 v[6:7], v[10:11], v[6:7]
	s_branch .LBB8_1378
.LBB8_1376:
	s_mov_b64 s[0:1], -1
                                        ; implicit-def: $vgpr6_vgpr7
.LBB8_1377:
	s_mov_b64 s[18:19], 0
.LBB8_1378:
	s_and_b64 vcc, exec, s[18:19]
	s_cbranch_vccz .LBB8_1398
; %bb.1379:
	s_cmp_lt_i32 s22, 27
	s_cbranch_scc1 .LBB8_1382
; %bb.1380:
	s_cmp_gt_i32 s22, 27
	s_cbranch_scc0 .LBB8_1383
; %bb.1381:
	global_load_dword v3, v[8:9], off
	s_mov_b64 s[16:17], 0
	s_waitcnt vmcnt(0)
	v_cvt_f64_u32_e32 v[6:7], v3
	s_branch .LBB8_1384
.LBB8_1382:
	s_mov_b64 s[16:17], -1
                                        ; implicit-def: $vgpr6_vgpr7
	s_branch .LBB8_1387
.LBB8_1383:
	s_mov_b64 s[16:17], -1
                                        ; implicit-def: $vgpr6_vgpr7
.LBB8_1384:
	s_andn2_b64 vcc, exec, s[16:17]
	s_cbranch_vccnz .LBB8_1386
; %bb.1385:
	global_load_ushort v3, v[8:9], off
	s_waitcnt vmcnt(0)
	v_cvt_f64_u32_e32 v[6:7], v3
.LBB8_1386:
	s_mov_b64 s[16:17], 0
.LBB8_1387:
	s_andn2_b64 vcc, exec, s[16:17]
	s_cbranch_vccnz .LBB8_1397
; %bb.1388:
	global_load_ubyte v3, v[8:9], off
	s_movk_i32 s16, 0x7f
	s_waitcnt vmcnt(0)
	v_cmp_lt_i16_e32 vcc, s16, v3
	s_mov_b64 s[16:17], 0
	s_and_saveexec_b64 s[18:19], vcc
	s_xor_b64 s[18:19], exec, s[18:19]
	s_cbranch_execz .LBB8_1392
; %bb.1389:
	s_movk_i32 s16, 0x80
	v_cmp_eq_u16_e32 vcc, s16, v3
	s_mov_b64 s[16:17], -1
	s_and_saveexec_b64 s[20:21], vcc
; %bb.1390:
	s_xor_b64 s[16:17], exec, -1
; %bb.1391:
	s_or_b64 exec, exec, s[20:21]
	s_and_b64 s[16:17], s[16:17], exec
.LBB8_1392:
	s_or_saveexec_b64 s[18:19], s[18:19]
	v_bfrev_b32_e32 v6, 4
	v_mov_b32_e32 v7, 0x7ff80000
	s_xor_b64 exec, exec, s[18:19]
; %bb.1393:
	v_cmp_ne_u16_e32 vcc, 0, v3
	s_andn2_b64 s[16:17], s[16:17], exec
	s_and_b64 s[20:21], vcc, exec
	v_mov_b64_e32 v[6:7], 0
	s_or_b64 s[16:17], s[16:17], s[20:21]
; %bb.1394:
	s_or_b64 exec, exec, s[18:19]
	s_and_saveexec_b64 s[18:19], s[16:17]
	s_cbranch_execz .LBB8_1396
; %bb.1395:
	v_lshlrev_b32_e32 v6, 24, v3
	v_and_b32_e32 v3, 0xffff, v3
	v_and_b32_e32 v7, 7, v3
	v_ffbh_u32_e32 v11, v7
	v_min_u32_e32 v11, 32, v11
	v_subrev_u32_e32 v12, 28, v11
	v_bfe_u32 v10, v3, 3, 4
	v_lshlrev_b32_e32 v3, v12, v3
	v_sub_u32_e32 v11, 29, v11
	v_and_b32_e32 v3, 7, v3
	v_cmp_eq_u32_e32 vcc, 0, v10
	v_and_b32_e32 v6, 0x80000000, v6
	s_nop 0
	v_cndmask_b32_e32 v10, v10, v11, vcc
	v_cndmask_b32_e32 v3, v7, v3, vcc
	v_mov_b32_e32 v7, 0x3b800000
	v_lshlrev_b32_e32 v3, 20, v3
	v_lshl_add_u32 v7, v10, 23, v7
	v_or3_b32 v3, v6, v7, v3
	v_cvt_f64_f32_e32 v[6:7], v3
.LBB8_1396:
	s_or_b64 exec, exec, s[18:19]
.LBB8_1397:
	s_mov_b64 s[16:17], -1
.LBB8_1398:
	s_mov_b64 s[18:19], 0
.LBB8_1399:
	s_and_b64 vcc, exec, s[18:19]
	s_cbranch_vccz .LBB8_1430
; %bb.1400:
	s_cmp_gt_i32 s22, 22
	s_cbranch_scc0 .LBB8_1412
; %bb.1401:
	s_cmp_lt_i32 s22, 24
	s_cbranch_scc1 .LBB8_1413
; %bb.1402:
	s_cmp_gt_i32 s22, 24
	s_cbranch_scc0 .LBB8_1414
; %bb.1403:
	global_load_ubyte v3, v[8:9], off
	s_movk_i32 s10, 0x7f
	s_waitcnt vmcnt(0)
	v_cmp_lt_i16_e32 vcc, s10, v3
	s_mov_b64 s[10:11], 0
	s_and_saveexec_b64 s[16:17], vcc
	s_xor_b64 s[16:17], exec, s[16:17]
	s_cbranch_execz .LBB8_1407
; %bb.1404:
	s_movk_i32 s10, 0x80
	v_cmp_eq_u16_e32 vcc, s10, v3
	s_mov_b64 s[10:11], -1
	s_and_saveexec_b64 s[18:19], vcc
; %bb.1405:
	s_xor_b64 s[10:11], exec, -1
; %bb.1406:
	s_or_b64 exec, exec, s[18:19]
	s_and_b64 s[10:11], s[10:11], exec
.LBB8_1407:
	s_or_saveexec_b64 s[16:17], s[16:17]
	v_bfrev_b32_e32 v6, 4
	v_mov_b32_e32 v7, 0x7ff80000
	s_xor_b64 exec, exec, s[16:17]
; %bb.1408:
	v_cmp_ne_u16_e32 vcc, 0, v3
	s_andn2_b64 s[10:11], s[10:11], exec
	s_and_b64 s[18:19], vcc, exec
	v_mov_b64_e32 v[6:7], 0
	s_or_b64 s[10:11], s[10:11], s[18:19]
; %bb.1409:
	s_or_b64 exec, exec, s[16:17]
	s_and_saveexec_b64 s[16:17], s[10:11]
	s_cbranch_execz .LBB8_1411
; %bb.1410:
	v_lshlrev_b32_e32 v6, 24, v3
	v_and_b32_e32 v3, 0xffff, v3
	v_and_b32_e32 v7, 3, v3
	v_ffbh_u32_e32 v11, v7
	v_min_u32_e32 v11, 32, v11
	v_subrev_u32_e32 v12, 29, v11
	v_bfe_u32 v10, v3, 2, 5
	v_lshlrev_b32_e32 v3, v12, v3
	v_sub_u32_e32 v11, 30, v11
	v_and_b32_e32 v3, 3, v3
	v_cmp_eq_u32_e32 vcc, 0, v10
	v_and_b32_e32 v6, 0x80000000, v6
	s_nop 0
	v_cndmask_b32_e32 v10, v10, v11, vcc
	v_cndmask_b32_e32 v3, v7, v3, vcc
	v_mov_b32_e32 v7, 0x37800000
	v_lshlrev_b32_e32 v3, 21, v3
	v_lshl_add_u32 v7, v10, 23, v7
	v_or3_b32 v3, v6, v7, v3
	v_cvt_f64_f32_e32 v[6:7], v3
.LBB8_1411:
	s_or_b64 exec, exec, s[16:17]
	s_mov_b64 s[10:11], 0
	s_branch .LBB8_1415
.LBB8_1412:
	s_mov_b64 s[10:11], -1
                                        ; implicit-def: $vgpr6_vgpr7
	s_branch .LBB8_1421
.LBB8_1413:
	s_mov_b64 s[10:11], -1
                                        ; implicit-def: $vgpr6_vgpr7
	s_branch .LBB8_1418
.LBB8_1414:
	s_mov_b64 s[10:11], -1
                                        ; implicit-def: $vgpr6_vgpr7
.LBB8_1415:
	s_and_b64 vcc, exec, s[10:11]
	s_cbranch_vccz .LBB8_1417
; %bb.1416:
	global_load_ubyte v3, v[8:9], off
	s_mov_b32 s10, 0x7f800000
	s_waitcnt vmcnt(0)
	v_lshlrev_b32_e32 v3, 24, v3
	v_and_b32_e32 v6, 0x7f000000, v3
	v_ffbh_u32_e32 v7, v6
	v_min_u32_e32 v7, 32, v7
	v_sub_u32_e64 v7, v7, 4 clamp
	v_lshlrev_b32_e32 v11, v7, v6
	v_lshlrev_b32_e32 v7, 23, v7
	v_lshrrev_b32_e32 v11, 4, v11
	v_add_u32_e32 v10, 0x1000000, v6
	v_sub_u32_e32 v7, v11, v7
	v_ashrrev_i32_e32 v10, 8, v10
	v_add_u32_e32 v7, 0x3c000000, v7
	v_and_or_b32 v7, v10, s10, v7
	v_cmp_ne_u32_e32 vcc, 0, v6
	s_brev_b32 s10, 1
	s_nop 0
	v_cndmask_b32_e32 v6, 0, v7, vcc
	v_and_or_b32 v3, v3, s10, v6
	v_cvt_f64_f32_e32 v[6:7], v3
.LBB8_1417:
	s_mov_b64 s[10:11], 0
.LBB8_1418:
	s_andn2_b64 vcc, exec, s[10:11]
	s_cbranch_vccnz .LBB8_1420
; %bb.1419:
	global_load_ubyte v3, v[8:9], off
	s_movk_i32 s10, 0x7f00
	s_brev_b32 s11, 16
	s_waitcnt vmcnt(0)
	v_lshlrev_b16_e32 v6, 8, v3
	v_lshlrev_b32_e32 v3, 25, v3
	v_lshrrev_b32_e32 v7, 4, v3
	v_and_or_b32 v10, v6, s10, 0.5
	v_or_b32_e32 v7, 0x70000000, v7
	v_add_f32_e32 v10, -0.5, v10
	v_mul_f32_e32 v7, 0x7800000, v7
	v_cmp_gt_u32_e32 vcc, s11, v3
	v_bfe_i32 v6, v6, 0, 16
	s_brev_b32 s10, 1
	v_cndmask_b32_e32 v3, v7, v10, vcc
	v_and_or_b32 v3, v6, s10, v3
	v_cvt_f64_f32_e32 v[6:7], v3
.LBB8_1420:
	s_mov_b64 s[10:11], 0
	s_mov_b64 s[16:17], -1
.LBB8_1421:
	s_andn2_b64 vcc, exec, s[10:11]
	s_mov_b64 s[10:11], 0
	s_cbranch_vccnz .LBB8_1430
; %bb.1422:
	s_cmp_gt_i32 s22, 14
	s_cbranch_scc0 .LBB8_1425
; %bb.1423:
	s_cmp_eq_u32 s22, 15
	s_cbranch_scc0 .LBB8_1426
; %bb.1424:
	global_load_ushort v3, v[8:9], off
	s_mov_b64 s[0:1], 0
	s_mov_b64 s[16:17], -1
	s_waitcnt vmcnt(0)
	v_lshlrev_b32_e32 v3, 16, v3
	v_cvt_f64_f32_e32 v[6:7], v3
	s_branch .LBB8_1427
.LBB8_1425:
	s_mov_b64 s[18:19], -1
                                        ; implicit-def: $vgpr6_vgpr7
	s_branch .LBB8_1428
.LBB8_1426:
	s_mov_b64 s[0:1], -1
                                        ; implicit-def: $vgpr6_vgpr7
.LBB8_1427:
	s_mov_b64 s[18:19], 0
.LBB8_1428:
	s_and_b64 vcc, exec, s[18:19]
	s_cbranch_vccz .LBB8_1430
; %bb.1429:
	s_cmp_lg_u32 s22, 11
	s_mov_b64 s[10:11], -1
	s_cselect_b64 s[0:1], -1, 0
.LBB8_1430:
	s_and_b64 vcc, exec, s[0:1]
	s_cbranch_vccnz .LBB8_1505
; %bb.1431:
	s_andn2_b64 vcc, exec, s[10:11]
	s_cbranch_vccnz .LBB8_1433
.LBB8_1432:
	global_load_ubyte v3, v[8:9], off
	v_mov_b32_e32 v7, 0x3ff00000
	v_mov_b32_e32 v6, 0
	s_mov_b64 s[16:17], -1
	s_waitcnt vmcnt(0)
	v_cmp_ne_u16_e32 vcc, 0, v3
	s_nop 1
	v_cndmask_b32_e32 v7, 0, v7, vcc
.LBB8_1433:
	s_branch .LBB8_1361
.LBB8_1434:
	s_cmp_lt_i32 s22, 5
	s_cbranch_scc1 .LBB8_1439
; %bb.1435:
	s_cmp_lt_i32 s22, 8
	s_cbranch_scc1 .LBB8_1440
; %bb.1436:
	;; [unrolled: 3-line block ×3, first 2 shown]
	s_cmp_gt_i32 s22, 9
	s_cbranch_scc0 .LBB8_1442
; %bb.1438:
	global_load_dwordx2 v[6:7], v[8:9], off
	s_mov_b64 s[0:1], 0
	s_branch .LBB8_1443
.LBB8_1439:
	s_mov_b64 s[0:1], -1
                                        ; implicit-def: $vgpr6_vgpr7
	s_branch .LBB8_1461
.LBB8_1440:
	s_mov_b64 s[0:1], -1
                                        ; implicit-def: $vgpr6_vgpr7
	s_branch .LBB8_1449
.LBB8_1441:
	s_mov_b64 s[0:1], -1
                                        ; implicit-def: $vgpr6_vgpr7
	s_branch .LBB8_1446
.LBB8_1442:
	s_mov_b64 s[0:1], -1
                                        ; implicit-def: $vgpr6_vgpr7
.LBB8_1443:
	s_andn2_b64 vcc, exec, s[0:1]
	s_cbranch_vccnz .LBB8_1445
; %bb.1444:
	global_load_dword v3, v[8:9], off
	s_waitcnt vmcnt(0)
	v_cvt_f64_f32_e32 v[6:7], v3
.LBB8_1445:
	s_mov_b64 s[0:1], 0
.LBB8_1446:
	s_andn2_b64 vcc, exec, s[0:1]
	s_cbranch_vccnz .LBB8_1448
; %bb.1447:
	global_load_dword v3, v[8:9], off
	s_waitcnt vmcnt(0)
	v_cvt_f32_f16_e32 v3, v3
	v_cvt_f64_f32_e32 v[6:7], v3
.LBB8_1448:
	s_mov_b64 s[0:1], 0
.LBB8_1449:
	s_andn2_b64 vcc, exec, s[0:1]
	s_cbranch_vccnz .LBB8_1460
; %bb.1450:
	s_cmp_lt_i32 s22, 6
	s_cbranch_scc1 .LBB8_1453
; %bb.1451:
	s_cmp_gt_i32 s22, 6
	s_cbranch_scc0 .LBB8_1454
; %bb.1452:
	global_load_dwordx2 v[6:7], v[8:9], off
	s_mov_b64 s[0:1], 0
	s_branch .LBB8_1455
.LBB8_1453:
	s_mov_b64 s[0:1], -1
                                        ; implicit-def: $vgpr6_vgpr7
	s_branch .LBB8_1458
.LBB8_1454:
	s_mov_b64 s[0:1], -1
                                        ; implicit-def: $vgpr6_vgpr7
.LBB8_1455:
	s_andn2_b64 vcc, exec, s[0:1]
	s_cbranch_vccnz .LBB8_1457
; %bb.1456:
	global_load_dword v3, v[8:9], off
	s_waitcnt vmcnt(0)
	v_cvt_f64_f32_e32 v[6:7], v3
.LBB8_1457:
	s_mov_b64 s[0:1], 0
.LBB8_1458:
	s_andn2_b64 vcc, exec, s[0:1]
	s_cbranch_vccnz .LBB8_1460
; %bb.1459:
	global_load_ushort v3, v[8:9], off
	s_waitcnt vmcnt(0)
	v_cvt_f32_f16_e32 v3, v3
	v_cvt_f64_f32_e32 v[6:7], v3
.LBB8_1460:
	s_mov_b64 s[0:1], 0
.LBB8_1461:
	s_andn2_b64 vcc, exec, s[0:1]
	s_cbranch_vccnz .LBB8_1481
; %bb.1462:
	s_cmp_lt_i32 s22, 2
	s_cbranch_scc1 .LBB8_1466
; %bb.1463:
	s_cmp_lt_i32 s22, 3
	s_cbranch_scc1 .LBB8_1467
; %bb.1464:
	s_cmp_gt_i32 s22, 3
	s_cbranch_scc0 .LBB8_1468
; %bb.1465:
	global_load_dwordx2 v[6:7], v[8:9], off
	s_mov_b64 s[0:1], 0
	s_waitcnt vmcnt(0)
	v_cvt_f64_i32_e32 v[10:11], v7
	v_cvt_f64_u32_e32 v[6:7], v6
	v_ldexp_f64 v[10:11], v[10:11], 32
	v_add_f64 v[6:7], v[10:11], v[6:7]
	s_branch .LBB8_1469
.LBB8_1466:
	s_mov_b64 s[0:1], -1
                                        ; implicit-def: $vgpr6_vgpr7
	s_branch .LBB8_1475
.LBB8_1467:
	s_mov_b64 s[0:1], -1
                                        ; implicit-def: $vgpr6_vgpr7
	s_branch .LBB8_1472
.LBB8_1468:
	s_mov_b64 s[0:1], -1
                                        ; implicit-def: $vgpr6_vgpr7
.LBB8_1469:
	s_andn2_b64 vcc, exec, s[0:1]
	s_cbranch_vccnz .LBB8_1471
; %bb.1470:
	global_load_dword v3, v[8:9], off
	s_waitcnt vmcnt(0)
	v_cvt_f64_i32_e32 v[6:7], v3
.LBB8_1471:
	s_mov_b64 s[0:1], 0
.LBB8_1472:
	s_andn2_b64 vcc, exec, s[0:1]
	s_cbranch_vccnz .LBB8_1474
; %bb.1473:
	global_load_sshort v3, v[8:9], off
	s_waitcnt vmcnt(0)
	v_cvt_f64_i32_e32 v[6:7], v3
.LBB8_1474:
	s_mov_b64 s[0:1], 0
.LBB8_1475:
	s_andn2_b64 vcc, exec, s[0:1]
	s_cbranch_vccnz .LBB8_1481
; %bb.1476:
	s_cmp_gt_i32 s22, 0
	s_cbranch_scc0 .LBB8_1478
; %bb.1477:
	global_load_sbyte v3, v[8:9], off
	s_mov_b64 s[0:1], 0
	s_waitcnt vmcnt(0)
	v_cvt_f64_i32_e32 v[6:7], v3
	s_branch .LBB8_1479
.LBB8_1478:
	s_mov_b64 s[0:1], -1
                                        ; implicit-def: $vgpr6_vgpr7
.LBB8_1479:
	s_andn2_b64 vcc, exec, s[0:1]
	s_cbranch_vccnz .LBB8_1481
; %bb.1480:
	global_load_ubyte v3, v[8:9], off
	s_waitcnt vmcnt(0)
	v_cvt_f64_u32_e32 v[6:7], v3
.LBB8_1481:
.LBB8_1482:
	s_mov_b32 s0, 0
	s_mov_b32 s1, 0x40200000
	s_waitcnt vmcnt(0)
	v_cmp_le_f64_e64 s[0:1], |v[6:7]|, s[0:1]
                                        ; implicit-def: $vgpr8_vgpr9
	s_and_saveexec_b64 s[10:11], s[0:1]
	s_xor_b64 s[0:1], exec, s[10:11]
	s_cbranch_execz .LBB8_1488
; %bb.1483:
	s_mov_b32 s10, 0xc3c4014
	v_fma_f64 v[8:9], |v[6:7]|, 0.5, -2.0
	v_mov_b32_e32 v10, 0xc38a0576
	v_mov_b32_e32 v11, 0xbc7857d0
	s_mov_b32 s11, 0x3c499f2a
	v_fmac_f64_e32 v[10:11], s[10:11], v[8:9]
	v_mov_b32_e32 v12, 0xc3c4014
	v_mov_b32_e32 v13, 0xbc499f2a
	s_mov_b32 s10, 0xe593bfac
	v_fmac_f64_e32 v[12:13], v[8:9], v[10:11]
	s_mov_b32 s11, 0x3ca663e3
	v_add_f64 v[12:13], v[12:13], s[10:11]
	s_mov_b32 s10, 0x7e0d1573
	v_fma_f64 v[10:11], v[8:9], v[12:13], -v[10:11]
	s_mov_b32 s11, 0xbcd3eaaa
	v_add_f64 v[10:11], v[10:11], s[10:11]
	s_mov_b32 s10, 0x615290c
	v_fma_f64 v[12:13], v[8:9], v[10:11], -v[12:13]
	;; [unrolled: 4-line block ×26, first 2 shown]
	s_mov_b32 s11, 0x3fd02a63
	v_add_f64 v[8:9], v[8:9], s[10:11]
	v_add_f64 v[8:9], v[8:9], -v[12:13]
	s_mov_b32 s10, 0x652b82fe
	v_mul_f64 v[8:9], v[8:9], 0.5
	s_mov_b32 s11, 0x3ff71547
	v_mul_f64 v[10:11], |v[6:7]|, v[8:9]
	v_mul_f64 v[8:9], |v[6:7]|, s[10:11]
	s_mov_b32 s10, 0xfefa39ef
	v_rndne_f64_e32 v[8:9], v[8:9]
	s_mov_b32 s11, 0xbfe62e42
	v_fma_f64 v[12:13], v[8:9], s[10:11], |v[6:7]|
	s_mov_b32 s10, 0x3b39803f
	s_mov_b32 s11, 0xbc7abc9e
	v_fmac_f64_e32 v[12:13], s[10:11], v[8:9]
	s_mov_b32 s10, 0x6a5dcb37
	v_mov_b32_e32 v16, 0xfca7ab0c
	v_mov_b32_e32 v17, 0x3e928af3
	s_mov_b32 s11, 0x3e5ade15
	v_fmac_f64_e32 v[16:17], s[10:11], v[12:13]
	v_mov_b32_e32 v18, 0x623fde64
	v_mov_b32_e32 v19, 0x3ec71dee
	v_fmac_f64_e32 v[18:19], v[12:13], v[16:17]
	v_mov_b32_e32 v16, 0x7c89e6b0
	v_mov_b32_e32 v17, 0x3efa0199
	;; [unrolled: 3-line block ×8, first 2 shown]
	v_fmac_f64_e32 v[16:17], v[12:13], v[18:19]
	v_fma_f64 v[16:17], v[12:13], v[16:17], 1.0
	v_cmp_ngt_f64_e32 vcc, 0, v[6:7]
	v_fma_f64 v[12:13], v[12:13], v[16:17], 1.0
	v_cvt_i32_f64_e32 v3, v[8:9]
                                        ; implicit-def: $vgpr8_vgpr9
	s_and_saveexec_b64 s[10:11], vcc
	s_xor_b64 s[10:11], exec, s[10:11]
; %bb.1484:
	s_mov_b32 s16, 0
	s_mov_b32 s17, 0x40900000
	v_ldexp_f64 v[8:9], v[12:13], v3
	v_mov_b32_e32 v3, 0x7ff00000
	v_cmp_ngt_f64_e64 vcc, |v[6:7]|, s[16:17]
                                        ; implicit-def: $vgpr12_vgpr13
	s_nop 1
	v_cndmask_b32_e32 v7, v3, v9, vcc
	v_cndmask_b32_e32 v6, 0, v8, vcc
	v_mul_f64 v[8:9], v[6:7], v[10:11]
                                        ; implicit-def: $vgpr3
                                        ; implicit-def: $vgpr6_vgpr7
                                        ; implicit-def: $vgpr10_vgpr11
; %bb.1485:
	s_andn2_saveexec_b64 s[10:11], s[10:11]
; %bb.1486:
	s_mov_b32 s16, 0
	s_mov_b32 s17, 0x40900000
	v_ldexp_f64 v[8:9], -v[12:13], v3
	v_mov_b32_e32 v3, 0xfff00000
	v_cmp_ngt_f64_e64 vcc, |v[6:7]|, s[16:17]
	s_nop 1
	v_cndmask_b32_e32 v7, v3, v9, vcc
	v_cndmask_b32_e32 v6, 0, v8, vcc
	v_mul_f64 v[8:9], v[6:7], v[10:11]
; %bb.1487:
	s_or_b64 exec, exec, s[10:11]
                                        ; implicit-def: $vgpr6_vgpr7
.LBB8_1488:
	s_andn2_saveexec_b64 s[10:11], s[0:1]
	s_cbranch_execz .LBB8_1494
; %bb.1489:
	s_mov_b32 s0, 0
	v_and_b32_e32 v9, 0x7fffffff, v7
	v_mov_b32_e32 v8, v6
	s_mov_b32 s1, 0x40400000
	v_div_scale_f64 v[10:11], s[16:17], v[8:9], v[8:9], s[0:1]
	v_rcp_f64_e32 v[12:13], v[10:11]
	v_div_scale_f64 v[8:9], vcc, s[0:1], v[8:9], s[0:1]
	v_mov_b32_e32 v18, 0xfca7ab0c
	v_fma_f64 v[16:17], -v[10:11], v[12:13], 1.0
	v_fmac_f64_e32 v[12:13], v[12:13], v[16:17]
	v_fma_f64 v[16:17], -v[10:11], v[12:13], 1.0
	v_fmac_f64_e32 v[12:13], v[12:13], v[16:17]
	v_mul_f64 v[16:17], v[8:9], v[12:13]
	v_fma_f64 v[8:9], -v[10:11], v[16:17], v[8:9]
	v_div_fmas_f64 v[8:9], v[8:9], v[12:13], v[16:17]
	v_div_fixup_f64 v[8:9], v[8:9], |v[6:7]|, s[0:1]
	s_mov_b32 s0, 0xb352e8e6
	v_add_f64 v[8:9], v[8:9], -2.0
	v_mov_b32_e32 v10, 0xea87b950
	v_mov_b32_e32 v11, 0x3c545b8a
	s_mov_b32 s1, 0x3c61556d
	v_fmac_f64_e32 v[10:11], s[0:1], v[8:9]
	v_mov_b32_e32 v12, 0xb352e8e6
	v_mov_b32_e32 v13, 0xbc61556d
	s_mov_b32 s0, 0xb2532277
	v_fmac_f64_e32 v[12:13], v[8:9], v[10:11]
	s_mov_b32 s1, 0xbc8acea3
	v_add_f64 v[12:13], v[12:13], s[0:1]
	s_mov_b32 s0, 0x9c773320
	v_fma_f64 v[10:11], v[8:9], v[12:13], -v[10:11]
	s_mov_b32 s1, 0xbc82806c
	v_add_f64 v[10:11], v[10:11], s[0:1]
	s_mov_b32 s0, 0xfceb588a
	v_fma_f64 v[12:13], v[8:9], v[10:11], -v[12:13]
	;; [unrolled: 4-line block ×22, first 2 shown]
	s_mov_b32 s1, 0x3fe8ea18
	v_add_f64 v[8:9], v[8:9], s[0:1]
	s_mov_b32 s0, 0x652b82fe
	s_mov_b32 s1, 0x3ff71547
	v_mul_f64 v[10:11], |v[6:7]|, s[0:1]
	s_mov_b32 s0, 0xfefa39ef
	v_rndne_f64_e32 v[10:11], v[10:11]
	s_mov_b32 s1, 0xbfe62e42
	v_fma_f64 v[16:17], v[10:11], s[0:1], |v[6:7]|
	s_mov_b32 s0, 0x3b39803f
	s_mov_b32 s1, 0xbc7abc9e
	v_fmac_f64_e32 v[16:17], s[0:1], v[10:11]
	s_mov_b32 s0, 0x6a5dcb37
	v_mov_b32_e32 v19, 0x3e928af3
	s_mov_b32 s1, 0x3e5ade15
	v_fmac_f64_e32 v[18:19], s[0:1], v[16:17]
	v_mov_b32_e32 v20, 0x623fde64
	v_mov_b32_e32 v21, 0x3ec71dee
	v_fmac_f64_e32 v[20:21], v[16:17], v[18:19]
	v_mov_b32_e32 v18, 0x7c89e6b0
	v_mov_b32_e32 v19, 0x3efa0199
	;; [unrolled: 3-line block ×8, first 2 shown]
	v_fmac_f64_e32 v[18:19], v[16:17], v[20:21]
	v_fma_f64 v[18:19], v[16:17], v[18:19], 1.0
	s_mov_b32 s0, 0
	v_fma_f64 v[16:17], v[16:17], v[18:19], 1.0
	v_cvt_i32_f64_e32 v3, v[10:11]
	s_mov_b32 s1, 0x40900000
	v_ldexp_f64 v[10:11], v[16:17], v3
	v_mov_b32_e32 v3, 0x7ff00000
	v_cmp_ngt_f64_e64 s[0:1], |v[6:7]|, s[0:1]
	v_cmp_ngt_f64_e32 vcc, 0, v[6:7]
	v_add_f64 v[12:13], v[8:9], -v[12:13]
	v_cndmask_b32_e64 v11, v3, v11, s[0:1]
	v_cndmask_b32_e64 v10, 0, v10, s[0:1]
                                        ; implicit-def: $vgpr8_vgpr9
	s_and_saveexec_b64 s[0:1], vcc
	s_xor_b64 s[0:1], exec, s[0:1]
	s_cbranch_execz .LBB8_1491
; %bb.1490:
	s_mov_b32 s16, 0
	s_brev_b32 s17, 8
	v_mov_b32_e32 v3, 0x100
	v_cmp_lt_f64_e64 vcc, |v[6:7]|, s[16:17]
	v_mul_f64 v[12:13], v[12:13], 0.5
	v_mul_f64 v[10:11], v[10:11], v[12:13]
	v_cndmask_b32_e32 v3, 0, v3, vcc
	v_ldexp_f64 v[6:7], |v[6:7]|, v3
	v_rsq_f64_e32 v[8:9], v[6:7]
	v_mov_b32_e32 v3, 0xffffff80
	v_cndmask_b32_e32 v3, 0, v3, vcc
	v_mul_f64 v[12:13], v[6:7], v[8:9]
	v_mul_f64 v[8:9], v[8:9], 0.5
	v_fma_f64 v[16:17], -v[8:9], v[12:13], 0.5
	v_fmac_f64_e32 v[12:13], v[12:13], v[16:17]
	v_fma_f64 v[18:19], -v[12:13], v[12:13], v[6:7]
	v_fmac_f64_e32 v[8:9], v[8:9], v[16:17]
	v_fmac_f64_e32 v[12:13], v[18:19], v[8:9]
	v_fma_f64 v[16:17], -v[12:13], v[12:13], v[6:7]
	v_fmac_f64_e32 v[12:13], v[16:17], v[8:9]
	v_ldexp_f64 v[8:9], v[12:13], v3
	v_mov_b32_e32 v3, 0x260
	v_cmp_class_f64_e32 vcc, v[6:7], v3
	s_nop 1
	v_cndmask_b32_e32 v7, v9, v7, vcc
	v_cndmask_b32_e32 v6, v8, v6, vcc
	v_div_scale_f64 v[8:9], s[16:17], v[6:7], v[6:7], v[10:11]
	v_rcp_f64_e32 v[12:13], v[8:9]
	s_nop 0
	v_fma_f64 v[16:17], -v[8:9], v[12:13], 1.0
	v_fmac_f64_e32 v[12:13], v[12:13], v[16:17]
	v_fma_f64 v[16:17], -v[8:9], v[12:13], 1.0
	v_fmac_f64_e32 v[12:13], v[12:13], v[16:17]
	v_div_scale_f64 v[16:17], vcc, v[10:11], v[6:7], v[10:11]
	v_mul_f64 v[18:19], v[16:17], v[12:13]
	v_fma_f64 v[8:9], -v[8:9], v[18:19], v[16:17]
	s_nop 1
	v_div_fmas_f64 v[8:9], v[8:9], v[12:13], v[18:19]
	v_div_fixup_f64 v[8:9], v[8:9], v[6:7], v[10:11]
                                        ; implicit-def: $vgpr6_vgpr7
                                        ; implicit-def: $vgpr12_vgpr13
                                        ; implicit-def: $vgpr10_vgpr11
.LBB8_1491:
	s_andn2_saveexec_b64 s[0:1], s[0:1]
	s_cbranch_execz .LBB8_1493
; %bb.1492:
	s_mov_b32 s16, 0
	s_brev_b32 s17, 8
	v_mov_b32_e32 v3, 0x100
	v_cmp_lt_f64_e64 vcc, |v[6:7]|, s[16:17]
	s_nop 1
	v_cndmask_b32_e32 v3, 0, v3, vcc
	v_ldexp_f64 v[6:7], |v[6:7]|, v3
	v_rsq_f64_e32 v[8:9], v[6:7]
	v_mov_b32_e32 v3, 0xffffff80
	v_cndmask_b32_e32 v3, 0, v3, vcc
	v_mul_f64 v[16:17], v[6:7], v[8:9]
	v_mul_f64 v[8:9], v[8:9], 0.5
	v_fma_f64 v[18:19], -v[8:9], v[16:17], 0.5
	v_fmac_f64_e32 v[16:17], v[16:17], v[18:19]
	v_fma_f64 v[20:21], -v[16:17], v[16:17], v[6:7]
	v_fmac_f64_e32 v[8:9], v[8:9], v[18:19]
	v_fmac_f64_e32 v[16:17], v[20:21], v[8:9]
	v_fma_f64 v[18:19], -v[16:17], v[16:17], v[6:7]
	v_fmac_f64_e32 v[16:17], v[18:19], v[8:9]
	v_ldexp_f64 v[8:9], v[16:17], v3
	v_mov_b32_e32 v3, 0x260
	v_cmp_class_f64_e32 vcc, v[6:7], v3
	s_nop 1
	v_cndmask_b32_e32 v7, v9, v7, vcc
	v_cndmask_b32_e32 v6, v8, v6, vcc
	v_mul_f64 v[8:9], v[12:13], -0.5
	v_mul_f64 v[8:9], v[10:11], v[8:9]
	v_div_scale_f64 v[10:11], s[16:17], v[6:7], v[6:7], v[8:9]
	v_rcp_f64_e32 v[12:13], v[10:11]
	s_nop 0
	v_fma_f64 v[16:17], -v[10:11], v[12:13], 1.0
	v_fmac_f64_e32 v[12:13], v[12:13], v[16:17]
	v_fma_f64 v[16:17], -v[10:11], v[12:13], 1.0
	v_fmac_f64_e32 v[12:13], v[12:13], v[16:17]
	v_div_scale_f64 v[16:17], vcc, v[8:9], v[6:7], v[8:9]
	v_mul_f64 v[18:19], v[16:17], v[12:13]
	v_fma_f64 v[10:11], -v[10:11], v[18:19], v[16:17]
	s_nop 1
	v_div_fmas_f64 v[10:11], v[10:11], v[12:13], v[18:19]
	v_div_fixup_f64 v[8:9], v[10:11], v[6:7], v[8:9]
.LBB8_1493:
	s_or_b64 exec, exec, s[0:1]
.LBB8_1494:
	s_or_b64 exec, exec, s[10:11]
	v_add_u32_e32 v2, s9, v2
	v_ashrrev_i32_e32 v3, 31, v2
	s_cmp_lt_i32 s22, 11
	v_lshl_add_u64 v[6:7], s[6:7], 0, v[2:3]
	s_cbranch_scc1 .LBB8_1501
; %bb.1495:
	s_cmp_gt_i32 s22, 25
	s_mov_b64 s[6:7], 0
	s_cbranch_scc0 .LBB8_1502
; %bb.1496:
	s_cmp_gt_i32 s22, 28
	s_cbranch_scc0 .LBB8_1503
; %bb.1497:
	s_cmp_gt_i32 s22, 43
	;; [unrolled: 3-line block ×3, first 2 shown]
	s_cbranch_scc0 .LBB8_1506
; %bb.1499:
	s_cmp_eq_u32 s22, 46
	s_mov_b64 s[16:17], 0
	s_cbranch_scc0 .LBB8_1507
; %bb.1500:
	global_load_dword v2, v[6:7], off
	s_mov_b64 s[0:1], 0
	s_mov_b64 s[10:11], -1
	s_waitcnt vmcnt(0)
	v_lshlrev_b32_e32 v2, 16, v2
	v_cvt_f64_f32_e32 v[2:3], v2
	s_branch .LBB8_1508
.LBB8_1501:
	s_mov_b64 s[0:1], -1
	s_mov_b64 s[10:11], 0
                                        ; implicit-def: $vgpr2_vgpr3
	s_branch .LBB8_1574
.LBB8_1502:
	s_mov_b64 s[16:17], -1
	s_mov_b64 s[10:11], 0
	s_mov_b64 s[0:1], 0
                                        ; implicit-def: $vgpr2_vgpr3
	s_branch .LBB8_1539
.LBB8_1503:
	s_mov_b64 s[16:17], -1
	s_mov_b64 s[10:11], 0
	s_mov_b64 s[0:1], 0
                                        ; implicit-def: $vgpr2_vgpr3
	s_branch .LBB8_1518
.LBB8_1504:
	s_mov_b64 s[16:17], -1
	s_mov_b64 s[10:11], 0
	s_mov_b64 s[0:1], 0
                                        ; implicit-def: $vgpr2_vgpr3
	s_branch .LBB8_1513
.LBB8_1505:
	s_trap 2
	s_or_b64 s[14:15], s[14:15], exec
	s_cbranch_execz .LBB8_1432
	s_branch .LBB8_1433
.LBB8_1506:
	s_mov_b64 s[16:17], -1
	s_mov_b64 s[10:11], 0
	s_mov_b64 s[0:1], 0
                                        ; implicit-def: $vgpr2_vgpr3
	s_branch .LBB8_1508
.LBB8_1507:
	s_mov_b64 s[0:1], -1
                                        ; implicit-def: $vgpr2_vgpr3
	s_mov_b64 s[10:11], 0
.LBB8_1508:
	s_and_b64 vcc, exec, s[16:17]
	s_cbranch_vccz .LBB8_1512
; %bb.1509:
	s_cmp_eq_u32 s22, 44
	s_cbranch_scc0 .LBB8_1511
; %bb.1510:
	global_load_ubyte v10, v[6:7], off
	s_movk_i32 s9, 0xff
	v_bfrev_b32_e32 v11, 4
	v_mov_b32_e32 v12, 0x7ff80000
	v_bfrev_b32_e32 v13, 28
	s_mov_b64 s[0:1], 0
	s_mov_b64 s[10:11], -1
	s_waitcnt vmcnt(0)
	v_lshlrev_b32_e32 v2, 23, v10
	v_cvt_f64_f32_e32 v[2:3], v2
	v_cmp_ne_u32_e32 vcc, s9, v10
	s_nop 1
	v_cndmask_b32_e32 v2, v11, v2, vcc
	v_cndmask_b32_e32 v3, v12, v3, vcc
	v_cmp_ne_u32_e32 vcc, 0, v10
	s_nop 1
	v_cndmask_b32_e32 v3, v13, v3, vcc
	v_cndmask_b32_e32 v2, 0, v2, vcc
	s_branch .LBB8_1512
.LBB8_1511:
	s_mov_b64 s[0:1], -1
                                        ; implicit-def: $vgpr2_vgpr3
.LBB8_1512:
	s_mov_b64 s[16:17], 0
.LBB8_1513:
	s_and_b64 vcc, exec, s[16:17]
	s_cbranch_vccz .LBB8_1517
; %bb.1514:
	s_cmp_eq_u32 s22, 29
	s_cbranch_scc0 .LBB8_1516
; %bb.1515:
	global_load_dwordx2 v[2:3], v[6:7], off
	s_mov_b64 s[0:1], 0
	s_mov_b64 s[10:11], -1
	s_mov_b64 s[16:17], 0
	s_waitcnt vmcnt(0)
	v_cvt_f64_u32_e32 v[10:11], v3
	v_cvt_f64_u32_e32 v[2:3], v2
	v_ldexp_f64 v[10:11], v[10:11], 32
	v_add_f64 v[2:3], v[10:11], v[2:3]
	s_branch .LBB8_1518
.LBB8_1516:
	s_mov_b64 s[0:1], -1
                                        ; implicit-def: $vgpr2_vgpr3
.LBB8_1517:
	s_mov_b64 s[16:17], 0
.LBB8_1518:
	s_and_b64 vcc, exec, s[16:17]
	s_cbranch_vccz .LBB8_1538
; %bb.1519:
	s_cmp_lt_i32 s22, 27
	s_cbranch_scc1 .LBB8_1522
; %bb.1520:
	s_cmp_gt_i32 s22, 27
	s_cbranch_scc0 .LBB8_1523
; %bb.1521:
	global_load_dword v2, v[6:7], off
	s_mov_b64 s[10:11], 0
	s_waitcnt vmcnt(0)
	v_cvt_f64_u32_e32 v[2:3], v2
	s_branch .LBB8_1524
.LBB8_1522:
	s_mov_b64 s[10:11], -1
                                        ; implicit-def: $vgpr2_vgpr3
	s_branch .LBB8_1527
.LBB8_1523:
	s_mov_b64 s[10:11], -1
                                        ; implicit-def: $vgpr2_vgpr3
.LBB8_1524:
	s_andn2_b64 vcc, exec, s[10:11]
	s_cbranch_vccnz .LBB8_1526
; %bb.1525:
	global_load_ushort v2, v[6:7], off
	s_waitcnt vmcnt(0)
	v_cvt_f64_u32_e32 v[2:3], v2
.LBB8_1526:
	s_mov_b64 s[10:11], 0
.LBB8_1527:
	s_andn2_b64 vcc, exec, s[10:11]
	s_cbranch_vccnz .LBB8_1537
; %bb.1528:
	global_load_ubyte v10, v[6:7], off
	s_movk_i32 s9, 0x7f
	s_mov_b64 s[10:11], 0
	s_waitcnt vmcnt(0)
	v_cmp_lt_i16_e32 vcc, s9, v10
	s_and_saveexec_b64 s[16:17], vcc
	s_xor_b64 s[16:17], exec, s[16:17]
	s_cbranch_execz .LBB8_1532
; %bb.1529:
	s_movk_i32 s9, 0x80
	v_cmp_eq_u16_e32 vcc, s9, v10
	s_mov_b64 s[10:11], -1
	s_and_saveexec_b64 s[18:19], vcc
; %bb.1530:
	s_xor_b64 s[10:11], exec, -1
; %bb.1531:
	s_or_b64 exec, exec, s[18:19]
	s_and_b64 s[10:11], s[10:11], exec
.LBB8_1532:
	s_or_saveexec_b64 s[16:17], s[16:17]
	v_bfrev_b32_e32 v2, 4
	v_mov_b32_e32 v3, 0x7ff80000
	s_xor_b64 exec, exec, s[16:17]
; %bb.1533:
	v_cmp_ne_u16_e32 vcc, 0, v10
	s_andn2_b64 s[10:11], s[10:11], exec
	s_and_b64 s[18:19], vcc, exec
	v_mov_b64_e32 v[2:3], 0
	s_or_b64 s[10:11], s[10:11], s[18:19]
; %bb.1534:
	s_or_b64 exec, exec, s[16:17]
	s_and_saveexec_b64 s[16:17], s[10:11]
	s_cbranch_execz .LBB8_1536
; %bb.1535:
	v_and_b32_e32 v3, 0xffff, v10
	v_lshlrev_b32_e32 v2, 24, v10
	v_and_b32_e32 v10, 7, v3
	v_ffbh_u32_e32 v12, v10
	v_min_u32_e32 v12, 32, v12
	v_subrev_u32_e32 v13, 28, v12
	v_bfe_u32 v11, v3, 3, 4
	v_lshlrev_b32_e32 v3, v13, v3
	v_sub_u32_e32 v12, 29, v12
	v_and_b32_e32 v3, 7, v3
	v_cmp_eq_u32_e32 vcc, 0, v11
	v_and_b32_e32 v2, 0x80000000, v2
	s_nop 0
	v_cndmask_b32_e32 v11, v11, v12, vcc
	v_cndmask_b32_e32 v3, v10, v3, vcc
	v_mov_b32_e32 v10, 0x3b800000
	v_lshlrev_b32_e32 v3, 20, v3
	v_lshl_add_u32 v10, v11, 23, v10
	v_or3_b32 v2, v2, v10, v3
	v_cvt_f64_f32_e32 v[2:3], v2
.LBB8_1536:
	s_or_b64 exec, exec, s[16:17]
.LBB8_1537:
	s_mov_b64 s[10:11], -1
.LBB8_1538:
	s_mov_b64 s[16:17], 0
.LBB8_1539:
	s_and_b64 vcc, exec, s[16:17]
	s_cbranch_vccz .LBB8_1570
; %bb.1540:
	s_cmp_gt_i32 s22, 22
	s_cbranch_scc0 .LBB8_1552
; %bb.1541:
	s_cmp_lt_i32 s22, 24
	s_cbranch_scc1 .LBB8_1553
; %bb.1542:
	s_cmp_gt_i32 s22, 24
	s_cbranch_scc0 .LBB8_1554
; %bb.1543:
	global_load_ubyte v10, v[6:7], off
	s_movk_i32 s6, 0x7f
	s_waitcnt vmcnt(0)
	v_cmp_lt_i16_e32 vcc, s6, v10
	s_mov_b64 s[6:7], 0
	s_and_saveexec_b64 s[10:11], vcc
	s_xor_b64 s[10:11], exec, s[10:11]
	s_cbranch_execz .LBB8_1547
; %bb.1544:
	s_movk_i32 s6, 0x80
	v_cmp_eq_u16_e32 vcc, s6, v10
	s_mov_b64 s[6:7], -1
	s_and_saveexec_b64 s[16:17], vcc
; %bb.1545:
	s_xor_b64 s[6:7], exec, -1
; %bb.1546:
	s_or_b64 exec, exec, s[16:17]
	s_and_b64 s[6:7], s[6:7], exec
.LBB8_1547:
	s_or_saveexec_b64 s[10:11], s[10:11]
	v_bfrev_b32_e32 v2, 4
	v_mov_b32_e32 v3, 0x7ff80000
	s_xor_b64 exec, exec, s[10:11]
; %bb.1548:
	v_cmp_ne_u16_e32 vcc, 0, v10
	s_andn2_b64 s[6:7], s[6:7], exec
	s_and_b64 s[16:17], vcc, exec
	v_mov_b64_e32 v[2:3], 0
	s_or_b64 s[6:7], s[6:7], s[16:17]
; %bb.1549:
	s_or_b64 exec, exec, s[10:11]
	s_and_saveexec_b64 s[10:11], s[6:7]
	s_cbranch_execz .LBB8_1551
; %bb.1550:
	v_and_b32_e32 v3, 0xffff, v10
	v_lshlrev_b32_e32 v2, 24, v10
	v_and_b32_e32 v10, 3, v3
	v_ffbh_u32_e32 v12, v10
	v_min_u32_e32 v12, 32, v12
	v_subrev_u32_e32 v13, 29, v12
	v_bfe_u32 v11, v3, 2, 5
	v_lshlrev_b32_e32 v3, v13, v3
	v_sub_u32_e32 v12, 30, v12
	v_and_b32_e32 v3, 3, v3
	v_cmp_eq_u32_e32 vcc, 0, v11
	v_and_b32_e32 v2, 0x80000000, v2
	s_nop 0
	v_cndmask_b32_e32 v11, v11, v12, vcc
	v_cndmask_b32_e32 v3, v10, v3, vcc
	v_mov_b32_e32 v10, 0x37800000
	v_lshlrev_b32_e32 v3, 21, v3
	v_lshl_add_u32 v10, v11, 23, v10
	v_or3_b32 v2, v2, v10, v3
	v_cvt_f64_f32_e32 v[2:3], v2
.LBB8_1551:
	s_or_b64 exec, exec, s[10:11]
	s_mov_b64 s[6:7], 0
	s_branch .LBB8_1555
.LBB8_1552:
	s_mov_b64 s[6:7], -1
                                        ; implicit-def: $vgpr2_vgpr3
	s_branch .LBB8_1561
.LBB8_1553:
	s_mov_b64 s[6:7], -1
                                        ; implicit-def: $vgpr2_vgpr3
	s_branch .LBB8_1558
.LBB8_1554:
	s_mov_b64 s[6:7], -1
                                        ; implicit-def: $vgpr2_vgpr3
.LBB8_1555:
	s_and_b64 vcc, exec, s[6:7]
	s_cbranch_vccz .LBB8_1557
; %bb.1556:
	global_load_ubyte v2, v[6:7], off
	s_mov_b32 s6, 0x7f800000
	s_waitcnt vmcnt(0)
	v_lshlrev_b32_e32 v2, 24, v2
	v_and_b32_e32 v3, 0x7f000000, v2
	v_ffbh_u32_e32 v10, v3
	v_min_u32_e32 v10, 32, v10
	v_sub_u32_e64 v10, v10, 4 clamp
	v_lshlrev_b32_e32 v12, v10, v3
	v_lshlrev_b32_e32 v10, 23, v10
	v_lshrrev_b32_e32 v12, 4, v12
	v_add_u32_e32 v11, 0x1000000, v3
	v_sub_u32_e32 v10, v12, v10
	v_ashrrev_i32_e32 v11, 8, v11
	v_add_u32_e32 v10, 0x3c000000, v10
	v_and_or_b32 v10, v11, s6, v10
	v_cmp_ne_u32_e32 vcc, 0, v3
	s_brev_b32 s6, 1
	s_nop 0
	v_cndmask_b32_e32 v3, 0, v10, vcc
	v_and_or_b32 v2, v2, s6, v3
	v_cvt_f64_f32_e32 v[2:3], v2
.LBB8_1557:
	s_mov_b64 s[6:7], 0
.LBB8_1558:
	s_andn2_b64 vcc, exec, s[6:7]
	s_cbranch_vccnz .LBB8_1560
; %bb.1559:
	global_load_ubyte v2, v[6:7], off
	s_movk_i32 s6, 0x7f00
	s_brev_b32 s7, 16
	s_waitcnt vmcnt(0)
	v_lshlrev_b16_e32 v3, 8, v2
	v_lshlrev_b32_e32 v2, 25, v2
	v_lshrrev_b32_e32 v10, 4, v2
	v_and_or_b32 v11, v3, s6, 0.5
	v_or_b32_e32 v10, 0x70000000, v10
	v_add_f32_e32 v11, -0.5, v11
	v_mul_f32_e32 v10, 0x7800000, v10
	v_cmp_gt_u32_e32 vcc, s7, v2
	v_bfe_i32 v3, v3, 0, 16
	s_brev_b32 s6, 1
	v_cndmask_b32_e32 v2, v10, v11, vcc
	v_and_or_b32 v2, v3, s6, v2
	v_cvt_f64_f32_e32 v[2:3], v2
.LBB8_1560:
	s_mov_b64 s[6:7], 0
	s_mov_b64 s[10:11], -1
.LBB8_1561:
	s_andn2_b64 vcc, exec, s[6:7]
	s_mov_b64 s[6:7], 0
	s_cbranch_vccnz .LBB8_1570
; %bb.1562:
	s_cmp_gt_i32 s22, 14
	s_cbranch_scc0 .LBB8_1565
; %bb.1563:
	s_cmp_eq_u32 s22, 15
	s_cbranch_scc0 .LBB8_1566
; %bb.1564:
	global_load_ushort v2, v[6:7], off
	s_mov_b64 s[0:1], 0
	s_mov_b64 s[10:11], -1
	s_waitcnt vmcnt(0)
	v_lshlrev_b32_e32 v2, 16, v2
	v_cvt_f64_f32_e32 v[2:3], v2
	s_branch .LBB8_1567
.LBB8_1565:
	s_mov_b64 s[16:17], -1
                                        ; implicit-def: $vgpr2_vgpr3
	s_branch .LBB8_1568
.LBB8_1566:
	s_mov_b64 s[0:1], -1
                                        ; implicit-def: $vgpr2_vgpr3
.LBB8_1567:
	s_mov_b64 s[16:17], 0
.LBB8_1568:
	s_and_b64 vcc, exec, s[16:17]
	s_cbranch_vccz .LBB8_1570
; %bb.1569:
	s_cmp_lg_u32 s22, 11
	s_mov_b64 s[6:7], -1
	s_cselect_b64 s[0:1], -1, 0
.LBB8_1570:
	s_and_b64 vcc, exec, s[0:1]
	s_cbranch_vccnz .LBB8_2117
; %bb.1571:
	s_andn2_b64 vcc, exec, s[6:7]
	s_cbranch_vccnz .LBB8_1573
.LBB8_1572:
	global_load_ubyte v3, v[6:7], off
	v_mov_b32_e32 v10, 0x3ff00000
	v_mov_b32_e32 v2, 0
	s_mov_b64 s[10:11], -1
	s_waitcnt vmcnt(0)
	v_cmp_ne_u16_e32 vcc, 0, v3
	s_nop 1
	v_cndmask_b32_e32 v3, 0, v10, vcc
.LBB8_1573:
	s_mov_b64 s[0:1], 0
.LBB8_1574:
	s_and_b64 vcc, exec, s[0:1]
	s_cbranch_vccz .LBB8_1623
; %bb.1575:
	s_cmp_lt_i32 s22, 5
	s_cbranch_scc1 .LBB8_1580
; %bb.1576:
	s_cmp_lt_i32 s22, 8
	s_cbranch_scc1 .LBB8_1581
	;; [unrolled: 3-line block ×3, first 2 shown]
; %bb.1578:
	s_cmp_gt_i32 s22, 9
	s_cbranch_scc0 .LBB8_1583
; %bb.1579:
	global_load_dwordx2 v[2:3], v[6:7], off
	s_mov_b64 s[0:1], 0
	s_branch .LBB8_1584
.LBB8_1580:
	s_mov_b64 s[0:1], -1
                                        ; implicit-def: $vgpr2_vgpr3
	s_branch .LBB8_1602
.LBB8_1581:
	s_mov_b64 s[0:1], -1
                                        ; implicit-def: $vgpr2_vgpr3
	s_branch .LBB8_1590
.LBB8_1582:
	s_mov_b64 s[0:1], -1
                                        ; implicit-def: $vgpr2_vgpr3
	s_branch .LBB8_1587
.LBB8_1583:
	s_mov_b64 s[0:1], -1
                                        ; implicit-def: $vgpr2_vgpr3
.LBB8_1584:
	s_andn2_b64 vcc, exec, s[0:1]
	s_cbranch_vccnz .LBB8_1586
; %bb.1585:
	global_load_dword v2, v[6:7], off
	s_waitcnt vmcnt(0)
	v_cvt_f64_f32_e32 v[2:3], v2
.LBB8_1586:
	s_mov_b64 s[0:1], 0
.LBB8_1587:
	s_andn2_b64 vcc, exec, s[0:1]
	s_cbranch_vccnz .LBB8_1589
; %bb.1588:
	global_load_dword v2, v[6:7], off
	s_waitcnt vmcnt(0)
	v_cvt_f32_f16_e32 v2, v2
	v_cvt_f64_f32_e32 v[2:3], v2
.LBB8_1589:
	s_mov_b64 s[0:1], 0
.LBB8_1590:
	s_andn2_b64 vcc, exec, s[0:1]
	s_cbranch_vccnz .LBB8_1601
; %bb.1591:
	s_cmp_lt_i32 s22, 6
	s_cbranch_scc1 .LBB8_1594
; %bb.1592:
	s_cmp_gt_i32 s22, 6
	s_cbranch_scc0 .LBB8_1595
; %bb.1593:
	global_load_dwordx2 v[2:3], v[6:7], off
	s_mov_b64 s[0:1], 0
	s_branch .LBB8_1596
.LBB8_1594:
	s_mov_b64 s[0:1], -1
                                        ; implicit-def: $vgpr2_vgpr3
	s_branch .LBB8_1599
.LBB8_1595:
	s_mov_b64 s[0:1], -1
                                        ; implicit-def: $vgpr2_vgpr3
.LBB8_1596:
	s_andn2_b64 vcc, exec, s[0:1]
	s_cbranch_vccnz .LBB8_1598
; %bb.1597:
	global_load_dword v2, v[6:7], off
	s_waitcnt vmcnt(0)
	v_cvt_f64_f32_e32 v[2:3], v2
.LBB8_1598:
	s_mov_b64 s[0:1], 0
.LBB8_1599:
	s_andn2_b64 vcc, exec, s[0:1]
	s_cbranch_vccnz .LBB8_1601
; %bb.1600:
	global_load_ushort v2, v[6:7], off
	s_waitcnt vmcnt(0)
	v_cvt_f32_f16_e32 v2, v2
	v_cvt_f64_f32_e32 v[2:3], v2
.LBB8_1601:
	s_mov_b64 s[0:1], 0
.LBB8_1602:
	s_andn2_b64 vcc, exec, s[0:1]
	s_cbranch_vccnz .LBB8_1622
; %bb.1603:
	s_cmp_lt_i32 s22, 2
	s_cbranch_scc1 .LBB8_1607
; %bb.1604:
	s_cmp_lt_i32 s22, 3
	s_cbranch_scc1 .LBB8_1608
; %bb.1605:
	s_cmp_gt_i32 s22, 3
	s_cbranch_scc0 .LBB8_1609
; %bb.1606:
	global_load_dwordx2 v[2:3], v[6:7], off
	s_mov_b64 s[0:1], 0
	s_waitcnt vmcnt(0)
	v_cvt_f64_i32_e32 v[10:11], v3
	v_cvt_f64_u32_e32 v[2:3], v2
	v_ldexp_f64 v[10:11], v[10:11], 32
	v_add_f64 v[2:3], v[10:11], v[2:3]
	s_branch .LBB8_1610
.LBB8_1607:
	s_mov_b64 s[0:1], -1
                                        ; implicit-def: $vgpr2_vgpr3
	s_branch .LBB8_1616
.LBB8_1608:
	s_mov_b64 s[0:1], -1
                                        ; implicit-def: $vgpr2_vgpr3
	s_branch .LBB8_1613
.LBB8_1609:
	s_mov_b64 s[0:1], -1
                                        ; implicit-def: $vgpr2_vgpr3
.LBB8_1610:
	s_andn2_b64 vcc, exec, s[0:1]
	s_cbranch_vccnz .LBB8_1612
; %bb.1611:
	global_load_dword v2, v[6:7], off
	s_waitcnt vmcnt(0)
	v_cvt_f64_i32_e32 v[2:3], v2
.LBB8_1612:
	s_mov_b64 s[0:1], 0
.LBB8_1613:
	s_andn2_b64 vcc, exec, s[0:1]
	s_cbranch_vccnz .LBB8_1615
; %bb.1614:
	global_load_sshort v2, v[6:7], off
	s_waitcnt vmcnt(0)
	v_cvt_f64_i32_e32 v[2:3], v2
.LBB8_1615:
	s_mov_b64 s[0:1], 0
.LBB8_1616:
	s_andn2_b64 vcc, exec, s[0:1]
	s_cbranch_vccnz .LBB8_1622
; %bb.1617:
	s_cmp_gt_i32 s22, 0
	s_cbranch_scc0 .LBB8_1619
; %bb.1618:
	global_load_sbyte v2, v[6:7], off
	s_mov_b64 s[0:1], 0
	s_waitcnt vmcnt(0)
	v_cvt_f64_i32_e32 v[2:3], v2
	s_branch .LBB8_1620
.LBB8_1619:
	s_mov_b64 s[0:1], -1
                                        ; implicit-def: $vgpr2_vgpr3
.LBB8_1620:
	s_andn2_b64 vcc, exec, s[0:1]
	s_cbranch_vccnz .LBB8_1622
; %bb.1621:
	global_load_ubyte v2, v[6:7], off
	s_waitcnt vmcnt(0)
	v_cvt_f64_u32_e32 v[2:3], v2
.LBB8_1622:
	s_mov_b64 s[10:11], -1
.LBB8_1623:
	s_andn2_b64 vcc, exec, s[10:11]
	s_cbranch_vccnz .LBB8_1714
; %bb.1624:
	s_mov_b32 s0, 0
	s_mov_b32 s1, 0x40200000
	s_waitcnt vmcnt(0)
	v_cmp_le_f64_e64 s[0:1], |v[2:3]|, s[0:1]
                                        ; implicit-def: $vgpr12_vgpr13
	s_and_saveexec_b64 s[6:7], s[0:1]
	s_xor_b64 s[0:1], exec, s[6:7]
	s_cbranch_execz .LBB8_1630
; %bb.1625:
	s_mov_b32 s6, 0xc3c4014
	v_fma_f64 v[6:7], |v[2:3]|, 0.5, -2.0
	v_mov_b32_e32 v10, 0xc38a0576
	v_mov_b32_e32 v11, 0xbc7857d0
	s_mov_b32 s7, 0x3c499f2a
	v_fmac_f64_e32 v[10:11], s[6:7], v[6:7]
	v_mov_b32_e32 v12, 0xc3c4014
	v_mov_b32_e32 v13, 0xbc499f2a
	s_mov_b32 s6, 0xe593bfac
	v_fmac_f64_e32 v[12:13], v[6:7], v[10:11]
	s_mov_b32 s7, 0x3ca663e3
	v_add_f64 v[12:13], v[12:13], s[6:7]
	s_mov_b32 s6, 0x7e0d1573
	v_fma_f64 v[10:11], v[6:7], v[12:13], -v[10:11]
	s_mov_b32 s7, 0xbcd3eaaa
	v_add_f64 v[10:11], v[10:11], s[6:7]
	s_mov_b32 s6, 0x615290c
	v_fma_f64 v[12:13], v[6:7], v[10:11], -v[12:13]
	;; [unrolled: 4-line block ×26, first 2 shown]
	s_mov_b32 s7, 0x3fd02a63
	v_add_f64 v[6:7], v[6:7], s[6:7]
	s_mov_b32 s6, 0x652b82fe
	s_mov_b32 s7, 0x3ff71547
	v_mul_f64 v[10:11], |v[2:3]|, s[6:7]
	s_mov_b32 s6, 0xfefa39ef
	v_add_f64 v[6:7], v[6:7], -v[12:13]
	v_rndne_f64_e32 v[12:13], v[10:11]
	s_mov_b32 s7, 0xbfe62e42
	v_fma_f64 v[10:11], v[12:13], s[6:7], |v[2:3]|
	s_mov_b32 s6, 0x3b39803f
	s_mov_b32 s7, 0xbc7abc9e
	v_fmac_f64_e32 v[10:11], s[6:7], v[12:13]
	s_mov_b32 s6, 0x6a5dcb37
	v_mov_b32_e32 v16, 0xfca7ab0c
	v_mov_b32_e32 v17, 0x3e928af3
	s_mov_b32 s7, 0x3e5ade15
	v_fmac_f64_e32 v[16:17], s[6:7], v[10:11]
	v_mov_b32_e32 v18, 0x623fde64
	v_mov_b32_e32 v19, 0x3ec71dee
	v_fmac_f64_e32 v[18:19], v[10:11], v[16:17]
	v_mov_b32_e32 v16, 0x7c89e6b0
	v_mov_b32_e32 v17, 0x3efa0199
	;; [unrolled: 3-line block ×8, first 2 shown]
	v_fmac_f64_e32 v[16:17], v[10:11], v[18:19]
	v_mul_f64 v[6:7], v[6:7], 0.5
	v_fma_f64 v[16:17], v[10:11], v[16:17], 1.0
	v_cmp_ngt_f64_e32 vcc, 0, v[2:3]
	v_mul_f64 v[6:7], |v[2:3]|, v[6:7]
	v_fma_f64 v[10:11], v[10:11], v[16:17], 1.0
	v_cvt_i32_f64_e32 v15, v[12:13]
                                        ; implicit-def: $vgpr12_vgpr13
	s_and_saveexec_b64 s[6:7], vcc
	s_xor_b64 s[6:7], exec, s[6:7]
; %bb.1626:
	s_mov_b32 s10, 0
	s_mov_b32 s11, 0x40900000
	v_ldexp_f64 v[10:11], v[10:11], v15
	v_mov_b32_e32 v12, 0x7ff00000
	v_cmp_ngt_f64_e64 vcc, |v[2:3]|, s[10:11]
                                        ; implicit-def: $vgpr15
	s_nop 1
	v_cndmask_b32_e32 v3, v12, v11, vcc
	v_cndmask_b32_e32 v2, 0, v10, vcc
	v_mul_f64 v[12:13], v[2:3], v[6:7]
                                        ; implicit-def: $vgpr10_vgpr11
                                        ; implicit-def: $vgpr2_vgpr3
                                        ; implicit-def: $vgpr6_vgpr7
; %bb.1627:
	s_andn2_saveexec_b64 s[6:7], s[6:7]
; %bb.1628:
	s_mov_b32 s10, 0
	s_mov_b32 s11, 0x40900000
	v_ldexp_f64 v[10:11], -v[10:11], v15
	v_mov_b32_e32 v12, 0xfff00000
	v_cmp_ngt_f64_e64 vcc, |v[2:3]|, s[10:11]
	s_nop 1
	v_cndmask_b32_e32 v3, v12, v11, vcc
	v_cndmask_b32_e32 v2, 0, v10, vcc
	v_mul_f64 v[12:13], v[2:3], v[6:7]
; %bb.1629:
	s_or_b64 exec, exec, s[6:7]
                                        ; implicit-def: $vgpr2_vgpr3
.LBB8_1630:
	s_andn2_saveexec_b64 s[6:7], s[0:1]
	s_cbranch_execz .LBB8_1636
; %bb.1631:
	s_mov_b32 s0, 0
	v_and_b32_e32 v7, 0x7fffffff, v3
	v_mov_b32_e32 v6, v2
	s_mov_b32 s1, 0x40400000
	v_div_scale_f64 v[10:11], s[10:11], v[6:7], v[6:7], s[0:1]
	v_rcp_f64_e32 v[12:13], v[10:11]
	v_div_scale_f64 v[6:7], vcc, s[0:1], v[6:7], s[0:1]
	v_mov_b32_e32 v18, 0xfca7ab0c
	v_fma_f64 v[16:17], -v[10:11], v[12:13], 1.0
	v_fmac_f64_e32 v[12:13], v[12:13], v[16:17]
	v_fma_f64 v[16:17], -v[10:11], v[12:13], 1.0
	v_fmac_f64_e32 v[12:13], v[12:13], v[16:17]
	v_mul_f64 v[16:17], v[6:7], v[12:13]
	v_fma_f64 v[6:7], -v[10:11], v[16:17], v[6:7]
	v_div_fmas_f64 v[6:7], v[6:7], v[12:13], v[16:17]
	v_div_fixup_f64 v[6:7], v[6:7], |v[2:3]|, s[0:1]
	s_mov_b32 s0, 0xb352e8e6
	v_add_f64 v[6:7], v[6:7], -2.0
	v_mov_b32_e32 v10, 0xea87b950
	v_mov_b32_e32 v11, 0x3c545b8a
	s_mov_b32 s1, 0x3c61556d
	v_fmac_f64_e32 v[10:11], s[0:1], v[6:7]
	v_mov_b32_e32 v12, 0xb352e8e6
	v_mov_b32_e32 v13, 0xbc61556d
	s_mov_b32 s0, 0xb2532277
	v_fmac_f64_e32 v[12:13], v[6:7], v[10:11]
	s_mov_b32 s1, 0xbc8acea3
	v_add_f64 v[12:13], v[12:13], s[0:1]
	s_mov_b32 s0, 0x9c773320
	v_fma_f64 v[10:11], v[6:7], v[12:13], -v[10:11]
	s_mov_b32 s1, 0xbc82806c
	v_add_f64 v[10:11], v[10:11], s[0:1]
	s_mov_b32 s0, 0xfceb588a
	v_fma_f64 v[12:13], v[6:7], v[10:11], -v[12:13]
	;; [unrolled: 4-line block ×22, first 2 shown]
	s_mov_b32 s1, 0x3fe8ea18
	v_add_f64 v[10:11], v[6:7], s[0:1]
	s_mov_b32 s0, 0x652b82fe
	s_mov_b32 s1, 0x3ff71547
	v_mul_f64 v[6:7], |v[2:3]|, s[0:1]
	s_mov_b32 s0, 0xfefa39ef
	v_rndne_f64_e32 v[6:7], v[6:7]
	s_mov_b32 s1, 0xbfe62e42
	v_fma_f64 v[16:17], v[6:7], s[0:1], |v[2:3]|
	s_mov_b32 s0, 0x3b39803f
	s_mov_b32 s1, 0xbc7abc9e
	v_fmac_f64_e32 v[16:17], s[0:1], v[6:7]
	s_mov_b32 s0, 0x6a5dcb37
	v_mov_b32_e32 v19, 0x3e928af3
	s_mov_b32 s1, 0x3e5ade15
	v_fmac_f64_e32 v[18:19], s[0:1], v[16:17]
	v_mov_b32_e32 v20, 0x623fde64
	v_mov_b32_e32 v21, 0x3ec71dee
	v_fmac_f64_e32 v[20:21], v[16:17], v[18:19]
	v_mov_b32_e32 v18, 0x7c89e6b0
	v_mov_b32_e32 v19, 0x3efa0199
	;; [unrolled: 3-line block ×8, first 2 shown]
	v_fmac_f64_e32 v[18:19], v[16:17], v[20:21]
	v_fma_f64 v[18:19], v[16:17], v[18:19], 1.0
	s_mov_b32 s0, 0
	v_fma_f64 v[16:17], v[16:17], v[18:19], 1.0
	v_cvt_i32_f64_e32 v6, v[6:7]
	s_mov_b32 s1, 0x40900000
	v_ldexp_f64 v[6:7], v[16:17], v6
	v_mov_b32_e32 v15, 0x7ff00000
	v_cmp_ngt_f64_e64 s[0:1], |v[2:3]|, s[0:1]
	v_cmp_ngt_f64_e32 vcc, 0, v[2:3]
	v_add_f64 v[10:11], v[10:11], -v[12:13]
	v_cndmask_b32_e64 v7, v15, v7, s[0:1]
	v_cndmask_b32_e64 v6, 0, v6, s[0:1]
                                        ; implicit-def: $vgpr12_vgpr13
	s_and_saveexec_b64 s[0:1], vcc
	s_xor_b64 s[0:1], exec, s[0:1]
	s_cbranch_execz .LBB8_1633
; %bb.1632:
	s_mov_b32 s10, 0
	s_brev_b32 s11, 8
	v_mov_b32_e32 v12, 0x100
	v_cmp_lt_f64_e64 vcc, |v[2:3]|, s[10:11]
	v_mul_f64 v[10:11], v[10:11], 0.5
	v_mul_f64 v[6:7], v[6:7], v[10:11]
	v_cndmask_b32_e32 v12, 0, v12, vcc
	v_ldexp_f64 v[2:3], |v[2:3]|, v12
	v_rsq_f64_e32 v[12:13], v[2:3]
	s_nop 0
	v_mul_f64 v[10:11], v[2:3], v[12:13]
	v_mul_f64 v[12:13], v[12:13], 0.5
	v_fma_f64 v[16:17], -v[12:13], v[10:11], 0.5
	v_fmac_f64_e32 v[10:11], v[10:11], v[16:17]
	v_fma_f64 v[18:19], -v[10:11], v[10:11], v[2:3]
	v_fmac_f64_e32 v[12:13], v[12:13], v[16:17]
	v_fmac_f64_e32 v[10:11], v[18:19], v[12:13]
	v_fma_f64 v[16:17], -v[10:11], v[10:11], v[2:3]
	v_fmac_f64_e32 v[10:11], v[16:17], v[12:13]
	v_mov_b32_e32 v12, 0xffffff80
	v_cndmask_b32_e32 v12, 0, v12, vcc
	v_ldexp_f64 v[10:11], v[10:11], v12
	v_mov_b32_e32 v12, 0x260
	v_cmp_class_f64_e32 vcc, v[2:3], v12
	s_nop 1
	v_cndmask_b32_e32 v3, v11, v3, vcc
	v_cndmask_b32_e32 v2, v10, v2, vcc
	v_div_scale_f64 v[10:11], s[10:11], v[2:3], v[2:3], v[6:7]
	v_rcp_f64_e32 v[12:13], v[10:11]
	s_nop 0
	v_fma_f64 v[16:17], -v[10:11], v[12:13], 1.0
	v_fmac_f64_e32 v[12:13], v[12:13], v[16:17]
	v_fma_f64 v[16:17], -v[10:11], v[12:13], 1.0
	v_fmac_f64_e32 v[12:13], v[12:13], v[16:17]
	v_div_scale_f64 v[16:17], vcc, v[6:7], v[2:3], v[6:7]
	v_mul_f64 v[18:19], v[16:17], v[12:13]
	v_fma_f64 v[10:11], -v[10:11], v[18:19], v[16:17]
	s_nop 1
	v_div_fmas_f64 v[10:11], v[10:11], v[12:13], v[18:19]
	v_div_fixup_f64 v[12:13], v[10:11], v[2:3], v[6:7]
                                        ; implicit-def: $vgpr2_vgpr3
                                        ; implicit-def: $vgpr10_vgpr11
                                        ; implicit-def: $vgpr6_vgpr7
.LBB8_1633:
	s_andn2_saveexec_b64 s[0:1], s[0:1]
	s_cbranch_execz .LBB8_1635
; %bb.1634:
	s_mov_b32 s10, 0
	s_brev_b32 s11, 8
	v_mov_b32_e32 v12, 0x100
	v_cmp_lt_f64_e64 vcc, |v[2:3]|, s[10:11]
	v_mov_b32_e32 v15, 0x260
	v_mul_f64 v[10:11], v[10:11], -0.5
	v_cndmask_b32_e32 v12, 0, v12, vcc
	v_ldexp_f64 v[2:3], |v[2:3]|, v12
	v_rsq_f64_e32 v[12:13], v[2:3]
	v_mul_f64 v[6:7], v[6:7], v[10:11]
	v_mul_f64 v[16:17], v[2:3], v[12:13]
	v_mul_f64 v[12:13], v[12:13], 0.5
	v_fma_f64 v[18:19], -v[12:13], v[16:17], 0.5
	v_fmac_f64_e32 v[16:17], v[16:17], v[18:19]
	v_fma_f64 v[20:21], -v[16:17], v[16:17], v[2:3]
	v_fmac_f64_e32 v[12:13], v[12:13], v[18:19]
	v_fmac_f64_e32 v[16:17], v[20:21], v[12:13]
	v_fma_f64 v[18:19], -v[16:17], v[16:17], v[2:3]
	v_fmac_f64_e32 v[16:17], v[18:19], v[12:13]
	v_mov_b32_e32 v12, 0xffffff80
	v_cndmask_b32_e32 v12, 0, v12, vcc
	v_ldexp_f64 v[12:13], v[16:17], v12
	v_cmp_class_f64_e32 vcc, v[2:3], v15
	s_nop 1
	v_cndmask_b32_e32 v3, v13, v3, vcc
	v_cndmask_b32_e32 v2, v12, v2, vcc
	v_div_scale_f64 v[10:11], s[10:11], v[2:3], v[2:3], v[6:7]
	v_rcp_f64_e32 v[12:13], v[10:11]
	s_nop 0
	v_fma_f64 v[16:17], -v[10:11], v[12:13], 1.0
	v_fmac_f64_e32 v[12:13], v[12:13], v[16:17]
	v_fma_f64 v[16:17], -v[10:11], v[12:13], 1.0
	v_fmac_f64_e32 v[12:13], v[12:13], v[16:17]
	v_div_scale_f64 v[16:17], vcc, v[6:7], v[2:3], v[6:7]
	v_mul_f64 v[18:19], v[16:17], v[12:13]
	v_fma_f64 v[10:11], -v[10:11], v[18:19], v[16:17]
	s_nop 1
	v_div_fmas_f64 v[10:11], v[10:11], v[12:13], v[18:19]
	v_div_fixup_f64 v[12:13], v[10:11], v[2:3], v[6:7]
.LBB8_1635:
	s_or_b64 exec, exec, s[0:1]
.LBB8_1636:
	s_or_b64 exec, exec, s[6:7]
	v_mul_lo_u32 v6, s8, v14
	v_ashrrev_i32_e32 v7, 31, v6
	s_and_b32 s20, s33, 0xff
	s_cmp_lt_i32 s20, 11
	v_lshl_add_u64 v[10:11], s[4:5], 0, v[6:7]
	s_cbranch_scc1 .LBB8_1760
; %bb.1637:
	s_and_b32 s9, 0xffff, s20
	s_mov_b64 s[16:17], -1
	s_mov_b64 s[6:7], 0
	s_cmp_gt_i32 s9, 25
	s_mov_b64 s[10:11], 0
	s_mov_b64 s[0:1], 0
	s_cbranch_scc0 .LBB8_1670
; %bb.1638:
	s_cmp_gt_i32 s9, 28
	s_cbranch_scc0 .LBB8_1653
; %bb.1639:
	s_cmp_gt_i32 s9, 43
	;; [unrolled: 3-line block ×3, first 2 shown]
	s_cbranch_scc0 .LBB8_1643
; %bb.1641:
	s_mov_b64 s[0:1], -1
	s_mov_b64 s[16:17], 0
	s_cmp_eq_u32 s9, 46
	s_cbranch_scc0 .LBB8_1643
; %bb.1642:
	v_cvt_f32_f64_e32 v2, v[0:1]
	v_bfe_u32 v3, v2, 16, 1
	s_movk_i32 s0, 0x7fff
	v_add3_u32 v3, v2, v3, s0
	v_cmp_o_f32_e32 vcc, v2, v2
	v_mov_b32_e32 v2, 0x7fc0
	s_mov_b64 s[0:1], 0
	v_cndmask_b32_sdwa v2, v2, v3, vcc dst_sel:DWORD dst_unused:UNUSED_PAD src0_sel:DWORD src1_sel:WORD_1
	global_store_dword v[10:11], v2, off
	s_mov_b64 s[10:11], -1
.LBB8_1643:
	s_and_b64 vcc, exec, s[16:17]
	s_cbranch_vccz .LBB8_1648
; %bb.1644:
	s_cmp_eq_u32 s9, 44
	s_mov_b64 s[0:1], -1
	s_cbranch_scc0 .LBB8_1648
; %bb.1645:
	v_cvt_f32_f64_e32 v2, v[0:1]
	v_bfe_u32 v3, v2, 23, 8
	s_movk_i32 s0, 0xff
	v_cmp_ne_u32_e32 vcc, s0, v3
	v_mov_b32_e32 v7, 0xff
	s_and_saveexec_b64 s[10:11], vcc
; %bb.1646:
	s_mov_b32 s0, 0x3fffff
	v_lshrrev_b32_e32 v7, 23, v2
	v_and_b32_e32 v14, 0x400000, v2
	v_and_or_b32 v2, v2, s0, v3
	v_cmp_ne_u32_e32 vcc, 0, v14
	v_cmp_ne_u32_e64 s[0:1], 0, v2
	s_and_b64 s[0:1], vcc, s[0:1]
	s_nop 0
	v_cndmask_b32_e64 v2, 0, 1, s[0:1]
	v_add_u32_e32 v7, v7, v2
; %bb.1647:
	s_or_b64 exec, exec, s[10:11]
	s_mov_b64 s[0:1], 0
	s_mov_b64 s[10:11], -1
	global_store_byte v[10:11], v7, off
.LBB8_1648:
	s_mov_b64 s[16:17], 0
.LBB8_1649:
	s_and_b64 vcc, exec, s[16:17]
	s_cbranch_vccz .LBB8_1652
; %bb.1650:
	s_cmp_eq_u32 s9, 29
	s_mov_b64 s[0:1], -1
	s_cbranch_scc0 .LBB8_1652
; %bb.1651:
	v_trunc_f64_e32 v[2:3], v[0:1]
	s_movk_i32 s0, 0xffe0
	v_ldexp_f64 v[14:15], v[2:3], s0
	v_floor_f64_e32 v[14:15], v[14:15]
	v_fmac_f64_e32 v[2:3], 0xc1f00000, v[14:15]
	v_cvt_u32_f64_e32 v17, v[14:15]
	v_cvt_u32_f64_e32 v16, v[2:3]
	global_store_dwordx2 v[10:11], v[16:17], off
	s_mov_b64 s[0:1], 0
	s_mov_b64 s[10:11], -1
.LBB8_1652:
	s_mov_b64 s[16:17], 0
.LBB8_1653:
	s_and_b64 vcc, exec, s[16:17]
	s_cbranch_vccz .LBB8_1669
; %bb.1654:
	s_cmp_lt_i32 s9, 27
	s_mov_b64 s[10:11], -1
	s_cbranch_scc1 .LBB8_1660
; %bb.1655:
	s_cmp_gt_i32 s9, 27
	v_cvt_u32_f64_e32 v2, v[0:1]
	s_cbranch_scc0 .LBB8_1657
; %bb.1656:
	s_mov_b64 s[10:11], 0
	global_store_dword v[10:11], v2, off
.LBB8_1657:
	s_andn2_b64 vcc, exec, s[10:11]
	s_cbranch_vccnz .LBB8_1659
; %bb.1658:
	global_store_short v[10:11], v2, off
.LBB8_1659:
	s_mov_b64 s[10:11], 0
.LBB8_1660:
	s_andn2_b64 vcc, exec, s[10:11]
	s_cbranch_vccnz .LBB8_1668
; %bb.1661:
	v_cvt_f32_f64_e32 v2, v[0:1]
	v_and_b32_e32 v3, 0x7fffffff, v2
	s_mov_b32 s10, 0x43800000
	v_cmp_gt_u32_e32 vcc, s10, v3
	v_mov_b32_e32 v7, 0x80
	s_and_saveexec_b64 s[10:11], vcc
	s_cbranch_execz .LBB8_1667
; %bb.1662:
	s_mov_b32 s16, 0x3bffffff
	v_cmp_lt_u32_e32 vcc, s16, v3
	s_mov_b64 s[16:17], 0
                                        ; implicit-def: $vgpr3
	s_and_saveexec_b64 s[18:19], vcc
	s_xor_b64 s[18:19], exec, s[18:19]
	s_cbranch_execz .LBB8_2118
; %bb.1663:
	v_bfe_u32 v3, v2, 20, 1
	s_mov_b32 s21, 0x487ffff
	v_add3_u32 v3, v2, v3, s21
	s_mov_b64 s[16:17], exec
	v_lshrrev_b32_e32 v3, 20, v3
	s_andn2_saveexec_b64 s[18:19], s[18:19]
	s_cbranch_execnz .LBB8_2119
.LBB8_1664:
	s_or_b64 exec, exec, s[18:19]
	v_mov_b32_e32 v7, 0
	s_and_saveexec_b64 s[18:19], s[16:17]
.LBB8_1665:
	v_lshrrev_b32_e32 v2, 24, v2
	s_movk_i32 s16, 0x80
	v_and_or_b32 v7, v2, s16, v3
.LBB8_1666:
	s_or_b64 exec, exec, s[18:19]
.LBB8_1667:
	s_or_b64 exec, exec, s[10:11]
	global_store_byte v[10:11], v7, off
.LBB8_1668:
	s_mov_b64 s[10:11], -1
.LBB8_1669:
	s_mov_b64 s[16:17], 0
.LBB8_1670:
	s_and_b64 vcc, exec, s[16:17]
	s_cbranch_vccz .LBB8_1710
; %bb.1671:
	s_cmp_gt_i32 s9, 22
	s_mov_b64 s[6:7], -1
	s_cbranch_scc0 .LBB8_1703
; %bb.1672:
	s_cmp_lt_i32 s9, 24
	s_cbranch_scc1 .LBB8_1692
; %bb.1673:
	s_cmp_gt_i32 s9, 24
	s_cbranch_scc0 .LBB8_1681
; %bb.1674:
	v_cvt_f32_f64_e32 v2, v[0:1]
	v_and_b32_e32 v3, 0x7fffffff, v2
	s_mov_b32 s6, 0x47800000
	v_cmp_gt_u32_e32 vcc, s6, v3
	v_mov_b32_e32 v7, 0x80
	s_and_saveexec_b64 s[6:7], vcc
	s_cbranch_execz .LBB8_1680
; %bb.1675:
	s_mov_b32 s10, 0x37ffffff
	v_cmp_lt_u32_e32 vcc, s10, v3
	s_mov_b64 s[10:11], 0
                                        ; implicit-def: $vgpr3
	s_and_saveexec_b64 s[16:17], vcc
	s_xor_b64 s[16:17], exec, s[16:17]
	s_cbranch_execz .LBB8_2121
; %bb.1676:
	v_bfe_u32 v3, v2, 21, 1
	s_mov_b32 s18, 0x88fffff
	v_add3_u32 v3, v2, v3, s18
	s_mov_b64 s[10:11], exec
	v_lshrrev_b32_e32 v3, 21, v3
	s_andn2_saveexec_b64 s[16:17], s[16:17]
	s_cbranch_execnz .LBB8_2122
.LBB8_1677:
	s_or_b64 exec, exec, s[16:17]
	v_mov_b32_e32 v7, 0
	s_and_saveexec_b64 s[16:17], s[10:11]
.LBB8_1678:
	v_lshrrev_b32_e32 v2, 24, v2
	s_movk_i32 s10, 0x80
	v_and_or_b32 v7, v2, s10, v3
.LBB8_1679:
	s_or_b64 exec, exec, s[16:17]
.LBB8_1680:
	s_or_b64 exec, exec, s[6:7]
	s_mov_b64 s[6:7], 0
	global_store_byte v[10:11], v7, off
.LBB8_1681:
	s_and_b64 vcc, exec, s[6:7]
	s_cbranch_vccz .LBB8_1691
; %bb.1682:
	v_cvt_f32_f64_e32 v2, v[0:1]
	v_and_b32_e32 v7, 0x7fffffff, v2
	s_mov_b32 s6, 0x43f00000
	v_cmp_gt_u32_e32 vcc, s6, v7
                                        ; implicit-def: $vgpr3
	s_and_saveexec_b64 s[6:7], vcc
	s_xor_b64 s[6:7], exec, s[6:7]
	s_cbranch_execz .LBB8_1688
; %bb.1683:
	s_mov_b32 s10, 0x3c7fffff
	v_cmp_lt_u32_e32 vcc, s10, v7
                                        ; implicit-def: $vgpr3
	s_and_saveexec_b64 s[10:11], vcc
	s_xor_b64 s[10:11], exec, s[10:11]
; %bb.1684:
	v_bfe_u32 v3, v2, 20, 1
	s_mov_b32 s16, 0x407ffff
	v_add3_u32 v3, v2, v3, s16
	v_lshrrev_b32_e32 v7, 20, v3
	v_and_b32_e32 v3, 0xff00000, v3
	s_mov_b32 s16, 0x7f00000
	v_mov_b32_e32 v14, 0x7e
	v_cmp_ne_u32_e32 vcc, s16, v3
	s_nop 1
	v_cndmask_b32_e32 v3, v14, v7, vcc
; %bb.1685:
	s_andn2_saveexec_b64 s[10:11], s[10:11]
; %bb.1686:
	s_mov_b32 s16, 0x46800000
	v_add_f32_e64 v3, |v2|, s16
; %bb.1687:
	s_or_b64 exec, exec, s[10:11]
                                        ; implicit-def: $vgpr7
.LBB8_1688:
	s_andn2_saveexec_b64 s[6:7], s[6:7]
; %bb.1689:
	s_mov_b32 s10, 0x7f800000
	v_mov_b32_e32 v3, 0x7e
	v_mov_b32_e32 v14, 0x7f
	v_cmp_lt_u32_e32 vcc, s10, v7
	s_nop 1
	v_cndmask_b32_e32 v3, v3, v14, vcc
; %bb.1690:
	s_or_b64 exec, exec, s[6:7]
	v_lshrrev_b32_e32 v2, 24, v2
	s_movk_i32 s6, 0x80
	v_and_or_b32 v2, v2, s6, v3
	global_store_byte v[10:11], v2, off
.LBB8_1691:
	s_mov_b64 s[6:7], 0
.LBB8_1692:
	s_andn2_b64 vcc, exec, s[6:7]
	s_cbranch_vccnz .LBB8_1702
; %bb.1693:
	v_cvt_f32_f64_e32 v2, v[0:1]
	v_and_b32_e32 v7, 0x7fffffff, v2
	s_mov_b32 s6, 0x47800000
	v_cmp_gt_u32_e32 vcc, s6, v7
                                        ; implicit-def: $vgpr3
	s_and_saveexec_b64 s[6:7], vcc
	s_xor_b64 s[6:7], exec, s[6:7]
	s_cbranch_execz .LBB8_1699
; %bb.1694:
	s_mov_b32 s10, 0x387fffff
	v_cmp_lt_u32_e32 vcc, s10, v7
                                        ; implicit-def: $vgpr3
	s_and_saveexec_b64 s[10:11], vcc
	s_xor_b64 s[10:11], exec, s[10:11]
; %bb.1695:
	v_bfe_u32 v3, v2, 21, 1
	s_mov_b32 s16, 0x80fffff
	v_add3_u32 v3, v2, v3, s16
	v_lshrrev_b32_e32 v3, 21, v3
; %bb.1696:
	s_andn2_saveexec_b64 s[10:11], s[10:11]
; %bb.1697:
	s_mov_b32 s16, 0x43000000
	v_add_f32_e64 v3, |v2|, s16
; %bb.1698:
	s_or_b64 exec, exec, s[10:11]
                                        ; implicit-def: $vgpr7
.LBB8_1699:
	s_andn2_saveexec_b64 s[6:7], s[6:7]
; %bb.1700:
	s_mov_b32 s10, 0x7f800000
	v_mov_b32_e32 v3, 0x7c
	v_mov_b32_e32 v14, 0x7f
	v_cmp_lt_u32_e32 vcc, s10, v7
	s_nop 1
	v_cndmask_b32_e32 v3, v3, v14, vcc
; %bb.1701:
	s_or_b64 exec, exec, s[6:7]
	v_lshrrev_b32_e32 v2, 24, v2
	s_movk_i32 s6, 0x80
	v_and_or_b32 v2, v2, s6, v3
	global_store_byte v[10:11], v2, off
.LBB8_1702:
	s_mov_b64 s[6:7], 0
	s_mov_b64 s[10:11], -1
.LBB8_1703:
	s_andn2_b64 vcc, exec, s[6:7]
	s_mov_b64 s[6:7], 0
	s_cbranch_vccnz .LBB8_1710
; %bb.1704:
	s_cmp_gt_i32 s9, 14
	s_mov_b64 s[16:17], -1
	s_cbranch_scc0 .LBB8_1708
; %bb.1705:
	s_cmp_eq_u32 s9, 15
	s_mov_b64 s[0:1], -1
	s_cbranch_scc0 .LBB8_1707
; %bb.1706:
	v_cvt_f32_f64_e32 v2, v[0:1]
	v_bfe_u32 v3, v2, 16, 1
	s_movk_i32 s0, 0x7fff
	v_add3_u32 v3, v2, v3, s0
	v_cmp_o_f32_e32 vcc, v2, v2
	v_mov_b32_e32 v2, 0x7fc0
	s_mov_b64 s[0:1], 0
	v_cndmask_b32_sdwa v2, v2, v3, vcc dst_sel:DWORD dst_unused:UNUSED_PAD src0_sel:DWORD src1_sel:WORD_1
	global_store_short v[10:11], v2, off
	s_mov_b64 s[10:11], -1
.LBB8_1707:
	s_mov_b64 s[16:17], 0
.LBB8_1708:
	s_and_b64 vcc, exec, s[16:17]
	s_cbranch_vccz .LBB8_1710
; %bb.1709:
	s_cmp_lg_u32 s9, 11
	s_mov_b64 s[6:7], -1
	s_cselect_b64 s[0:1], -1, 0
.LBB8_1710:
	s_and_b64 vcc, exec, s[0:1]
	s_cbranch_vccnz .LBB8_2120
; %bb.1711:
	s_andn2_b64 vcc, exec, s[6:7]
	s_cbranch_vccnz .LBB8_1713
.LBB8_1712:
	v_cmp_neq_f64_e32 vcc, 0, v[0:1]
	s_mov_b64 s[10:11], -1
	s_nop 0
	v_cndmask_b32_e64 v2, 0, 1, vcc
	global_store_byte v[10:11], v2, off
.LBB8_1713:
	s_mov_b64 s[0:1], 0
	s_branch .LBB8_1761
.LBB8_1714:
	s_mov_b64 s[0:1], 0
                                        ; implicit-def: $sgpr20
                                        ; implicit-def: $vgpr0_vgpr1
                                        ; implicit-def: $vgpr12_vgpr13
.LBB8_1715:
	s_mov_b64 s[4:5], 0
.LBB8_1716:
	s_and_b64 s[10:11], s[4:5], exec
	s_andn2_b64 s[4:5], s[12:13], exec
	s_and_b64 s[6:7], s[14:15], exec
	s_and_b64 s[0:1], s[0:1], exec
	s_or_b64 s[12:13], s[4:5], s[6:7]
.LBB8_1717:
	s_or_b64 exec, exec, s[2:3]
	s_and_saveexec_b64 s[2:3], s[12:13]
	s_cbranch_execz .LBB8_1720
; %bb.1718:
	; divergent unreachable
	s_or_b64 exec, exec, s[2:3]
	s_and_saveexec_b64 s[2:3], s[10:11]
	s_xor_b64 s[2:3], exec, s[2:3]
	s_cbranch_execnz .LBB8_1721
.LBB8_1719:
	s_or_b64 exec, exec, s[2:3]
	s_and_saveexec_b64 s[2:3], s[0:1]
	s_cbranch_execnz .LBB8_1722
	s_branch .LBB8_1759
.LBB8_1720:
	s_or_b64 exec, exec, s[2:3]
	s_and_saveexec_b64 s[2:3], s[10:11]
	s_xor_b64 s[2:3], exec, s[2:3]
	s_cbranch_execz .LBB8_1719
.LBB8_1721:
	v_cmp_neq_f64_e32 vcc, 0, v[12:13]
	s_waitcnt vmcnt(0)
	s_nop 0
	v_cndmask_b32_e64 v2, 0, 1, vcc
	global_store_byte v[0:1], v2, off
	s_or_b64 exec, exec, s[2:3]
	s_and_saveexec_b64 s[2:3], s[0:1]
	s_cbranch_execz .LBB8_1759
.LBB8_1722:
	s_sext_i32_i16 s2, s20
	s_cmp_lt_i32 s2, 5
	s_mov_b64 s[0:1], -1
	s_cbranch_scc1 .LBB8_1743
; %bb.1723:
	s_cmp_lt_i32 s2, 8
	s_cbranch_scc1 .LBB8_1733
; %bb.1724:
	s_cmp_lt_i32 s2, 9
	s_cbranch_scc1 .LBB8_1730
; %bb.1725:
	s_cmp_gt_i32 s2, 9
	s_cbranch_scc0 .LBB8_1727
; %bb.1726:
	v_mov_b32_e32 v14, 0
	v_mov_b32_e32 v15, v14
	global_store_dwordx4 v[0:1], v[12:15], off
	s_mov_b64 s[0:1], 0
.LBB8_1727:
	s_andn2_b64 vcc, exec, s[0:1]
	s_cbranch_vccnz .LBB8_1729
; %bb.1728:
	s_waitcnt vmcnt(0)
	v_cvt_f32_f64_e32 v2, v[12:13]
	v_mov_b32_e32 v3, 0
	global_store_dwordx2 v[0:1], v[2:3], off
.LBB8_1729:
	s_mov_b64 s[0:1], 0
.LBB8_1730:
	s_andn2_b64 vcc, exec, s[0:1]
	s_cbranch_vccnz .LBB8_1732
; %bb.1731:
	s_movk_i32 s0, 0x1ff
	s_waitcnt vmcnt(0)
	v_and_or_b32 v2, v13, s0, v12
	v_cmp_ne_u32_e32 vcc, 0, v2
	v_lshrrev_b32_e32 v3, 8, v13
	s_movk_i32 s0, 0xffe
	v_cndmask_b32_e64 v2, 0, 1, vcc
	v_bfe_u32 v4, v13, 20, 11
	v_and_or_b32 v2, v3, s0, v2
	v_sub_u32_e32 v5, 0x3f1, v4
	v_or_b32_e32 v3, 0x1000, v2
	v_med3_i32 v5, v5, 0, 13
	v_lshrrev_b32_e32 v6, v5, v3
	v_lshlrev_b32_e32 v5, v5, v6
	v_cmp_ne_u32_e32 vcc, v5, v3
	v_add_u32_e32 v4, 0xfffffc10, v4
	v_lshl_or_b32 v5, v4, 12, v2
	v_cndmask_b32_e64 v3, 0, 1, vcc
	v_or_b32_e32 v3, v6, v3
	v_cmp_gt_i32_e32 vcc, 1, v4
	s_movk_i32 s0, 0x40f
	s_nop 0
	v_cndmask_b32_e32 v3, v5, v3, vcc
	v_and_b32_e32 v5, 7, v3
	v_cmp_lt_i32_e32 vcc, 5, v5
	v_lshrrev_b32_e32 v3, 2, v3
	s_nop 0
	v_cndmask_b32_e64 v6, 0, 1, vcc
	v_cmp_eq_u32_e32 vcc, 3, v5
	s_nop 1
	v_cndmask_b32_e64 v5, 0, 1, vcc
	v_or_b32_e32 v5, v5, v6
	v_add_u32_e32 v3, v3, v5
	v_mov_b32_e32 v5, 0x7c00
	v_cmp_gt_i32_e32 vcc, 31, v4
	v_mov_b32_e32 v6, 0x7e00
	s_nop 0
	v_cndmask_b32_e32 v3, v5, v3, vcc
	v_cmp_ne_u32_e32 vcc, 0, v2
	s_nop 1
	v_cndmask_b32_e32 v2, v5, v6, vcc
	v_cmp_eq_u32_e32 vcc, s0, v4
	s_mov_b32 s0, 0x8000
	s_nop 0
	v_cndmask_b32_e32 v2, v3, v2, vcc
	v_and_b32_sdwa v3, v13, s0 dst_sel:DWORD dst_unused:UNUSED_PAD src0_sel:WORD_1 src1_sel:DWORD
	s_mov_b32 s0, 0xffff
	v_bitop3_b32 v2, v3, s0, v2 bitop3:0xc8
	global_store_dword v[0:1], v2, off
.LBB8_1732:
	s_mov_b64 s[0:1], 0
.LBB8_1733:
	s_andn2_b64 vcc, exec, s[0:1]
	s_cbranch_vccnz .LBB8_1742
; %bb.1734:
	s_sext_i32_i16 s2, s20
	s_cmp_lt_i32 s2, 6
	s_mov_b64 s[0:1], -1
	s_cbranch_scc1 .LBB8_1740
; %bb.1735:
	s_cmp_gt_i32 s2, 6
	s_cbranch_scc0 .LBB8_1737
; %bb.1736:
	global_store_dwordx2 v[0:1], v[12:13], off
	s_mov_b64 s[0:1], 0
.LBB8_1737:
	s_andn2_b64 vcc, exec, s[0:1]
	s_cbranch_vccnz .LBB8_1739
; %bb.1738:
	s_waitcnt vmcnt(0)
	v_cvt_f32_f64_e32 v2, v[12:13]
	global_store_dword v[0:1], v2, off
.LBB8_1739:
	s_mov_b64 s[0:1], 0
.LBB8_1740:
	s_andn2_b64 vcc, exec, s[0:1]
	s_cbranch_vccnz .LBB8_1742
; %bb.1741:
	s_movk_i32 s0, 0x1ff
	s_waitcnt vmcnt(0)
	v_and_or_b32 v2, v13, s0, v12
	v_cmp_ne_u32_e32 vcc, 0, v2
	v_lshrrev_b32_e32 v3, 8, v13
	s_movk_i32 s0, 0xffe
	v_cndmask_b32_e64 v2, 0, 1, vcc
	v_bfe_u32 v4, v13, 20, 11
	v_and_or_b32 v2, v3, s0, v2
	v_sub_u32_e32 v5, 0x3f1, v4
	v_or_b32_e32 v3, 0x1000, v2
	v_med3_i32 v5, v5, 0, 13
	v_lshrrev_b32_e32 v6, v5, v3
	v_lshlrev_b32_e32 v5, v5, v6
	v_cmp_ne_u32_e32 vcc, v5, v3
	v_add_u32_e32 v4, 0xfffffc10, v4
	v_lshl_or_b32 v5, v4, 12, v2
	v_cndmask_b32_e64 v3, 0, 1, vcc
	v_or_b32_e32 v3, v6, v3
	v_cmp_gt_i32_e32 vcc, 1, v4
	s_movk_i32 s0, 0x40f
	s_nop 0
	v_cndmask_b32_e32 v3, v5, v3, vcc
	v_and_b32_e32 v5, 7, v3
	v_cmp_lt_i32_e32 vcc, 5, v5
	v_lshrrev_b32_e32 v3, 2, v3
	s_nop 0
	v_cndmask_b32_e64 v6, 0, 1, vcc
	v_cmp_eq_u32_e32 vcc, 3, v5
	s_nop 1
	v_cndmask_b32_e64 v5, 0, 1, vcc
	v_or_b32_e32 v5, v5, v6
	v_add_u32_e32 v3, v3, v5
	v_mov_b32_e32 v5, 0x7c00
	v_cmp_gt_i32_e32 vcc, 31, v4
	v_mov_b32_e32 v6, 0x7e00
	s_nop 0
	v_cndmask_b32_e32 v3, v5, v3, vcc
	v_cmp_ne_u32_e32 vcc, 0, v2
	s_nop 1
	v_cndmask_b32_e32 v2, v5, v6, vcc
	v_cmp_eq_u32_e32 vcc, s0, v4
	s_mov_b32 s0, 0x8000
	s_nop 0
	v_cndmask_b32_e32 v2, v3, v2, vcc
	v_lshrrev_b32_e32 v3, 16, v13
	v_and_or_b32 v2, v3, s0, v2
	global_store_short v[0:1], v2, off
.LBB8_1742:
	s_mov_b64 s[0:1], 0
.LBB8_1743:
	s_andn2_b64 vcc, exec, s[0:1]
	s_cbranch_vccnz .LBB8_1759
; %bb.1744:
	s_sext_i32_i16 s2, s20
	s_cmp_lt_i32 s2, 2
	s_mov_b64 s[0:1], -1
	s_cbranch_scc1 .LBB8_1754
; %bb.1745:
	s_cmp_lt_i32 s2, 3
	s_cbranch_scc1 .LBB8_1751
; %bb.1746:
	s_cmp_gt_i32 s2, 3
	s_cbranch_scc0 .LBB8_1748
; %bb.1747:
	s_waitcnt vmcnt(0)
	v_trunc_f64_e32 v[2:3], v[12:13]
	s_movk_i32 s0, 0xffe0
	v_ldexp_f64 v[4:5], v[2:3], s0
	v_floor_f64_e32 v[4:5], v[4:5]
	v_fmac_f64_e32 v[2:3], 0xc1f00000, v[4:5]
	v_cvt_i32_f64_e32 v7, v[4:5]
	v_cvt_u32_f64_e32 v6, v[2:3]
	global_store_dwordx2 v[0:1], v[6:7], off
	s_mov_b64 s[0:1], 0
.LBB8_1748:
	s_andn2_b64 vcc, exec, s[0:1]
	s_cbranch_vccnz .LBB8_1750
; %bb.1749:
	s_waitcnt vmcnt(0)
	v_cvt_i32_f64_e32 v2, v[12:13]
	global_store_dword v[0:1], v2, off
.LBB8_1750:
	s_mov_b64 s[0:1], 0
.LBB8_1751:
	s_andn2_b64 vcc, exec, s[0:1]
	s_cbranch_vccnz .LBB8_1753
; %bb.1752:
	s_waitcnt vmcnt(0)
	v_cvt_i32_f64_e32 v2, v[12:13]
	global_store_short v[0:1], v2, off
.LBB8_1753:
	s_mov_b64 s[0:1], 0
.LBB8_1754:
	s_andn2_b64 vcc, exec, s[0:1]
	s_cbranch_vccnz .LBB8_1759
; %bb.1755:
	s_sext_i32_i16 s0, s20
	s_cmp_gt_i32 s0, 0
	s_mov_b64 s[0:1], -1
	s_cbranch_scc0 .LBB8_1757
; %bb.1756:
	s_waitcnt vmcnt(0)
	v_cvt_i32_f64_e32 v2, v[12:13]
	global_store_byte v[0:1], v2, off
	s_mov_b64 s[0:1], 0
.LBB8_1757:
	s_andn2_b64 vcc, exec, s[0:1]
	s_cbranch_vccnz .LBB8_1759
; %bb.1758:
	s_waitcnt vmcnt(0)
	v_trunc_f64_e32 v[2:3], v[12:13]
	s_movk_i32 s0, 0xffe0
	v_ldexp_f64 v[4:5], v[2:3], s0
	v_floor_f64_e32 v[4:5], v[4:5]
	v_fmac_f64_e32 v[2:3], 0xc1f00000, v[4:5]
	v_cvt_u32_f64_e32 v2, v[2:3]
	global_store_byte v[0:1], v2, off
	s_endpgm
.LBB8_1759:
	s_endpgm
.LBB8_1760:
	s_mov_b64 s[0:1], -1
	s_mov_b64 s[10:11], 0
.LBB8_1761:
	s_and_b64 vcc, exec, s[0:1]
	s_cbranch_vccz .LBB8_1800
; %bb.1762:
	s_and_b32 s6, 0xffff, s20
	s_cmp_lt_i32 s6, 5
	s_mov_b64 s[0:1], -1
	s_cbranch_scc1 .LBB8_1783
; %bb.1763:
	s_cmp_lt_i32 s6, 8
	s_cbranch_scc1 .LBB8_1773
; %bb.1764:
	s_cmp_lt_i32 s6, 9
	s_cbranch_scc1 .LBB8_1770
; %bb.1765:
	s_cmp_gt_i32 s6, 9
	s_cbranch_scc0 .LBB8_1767
; %bb.1766:
	v_mov_b32_e32 v2, 0
	v_mov_b32_e32 v3, v2
	global_store_dwordx4 v[10:11], v[0:3], off
	s_mov_b64 s[0:1], 0
.LBB8_1767:
	s_andn2_b64 vcc, exec, s[0:1]
	s_cbranch_vccnz .LBB8_1769
; %bb.1768:
	v_cvt_f32_f64_e32 v2, v[0:1]
	v_mov_b32_e32 v3, 0
	global_store_dwordx2 v[10:11], v[2:3], off
.LBB8_1769:
	s_mov_b64 s[0:1], 0
.LBB8_1770:
	s_andn2_b64 vcc, exec, s[0:1]
	s_cbranch_vccnz .LBB8_1772
; %bb.1771:
	s_movk_i32 s0, 0x1ff
	v_and_or_b32 v2, v1, s0, v0
	v_cmp_ne_u32_e32 vcc, 0, v2
	v_lshrrev_b32_e32 v3, 8, v1
	s_movk_i32 s0, 0xffe
	v_cndmask_b32_e64 v2, 0, 1, vcc
	v_bfe_u32 v7, v1, 20, 11
	v_and_or_b32 v2, v3, s0, v2
	v_sub_u32_e32 v14, 0x3f1, v7
	v_or_b32_e32 v3, 0x1000, v2
	v_med3_i32 v14, v14, 0, 13
	v_lshrrev_b32_e32 v15, v14, v3
	v_lshlrev_b32_e32 v14, v14, v15
	v_cmp_ne_u32_e32 vcc, v14, v3
	v_add_u32_e32 v7, 0xfffffc10, v7
	v_lshl_or_b32 v14, v7, 12, v2
	v_cndmask_b32_e64 v3, 0, 1, vcc
	v_or_b32_e32 v3, v15, v3
	v_cmp_gt_i32_e32 vcc, 1, v7
	s_movk_i32 s0, 0x40f
	s_nop 0
	v_cndmask_b32_e32 v3, v14, v3, vcc
	v_and_b32_e32 v14, 7, v3
	v_cmp_lt_i32_e32 vcc, 5, v14
	v_lshrrev_b32_e32 v3, 2, v3
	s_nop 0
	v_cndmask_b32_e64 v15, 0, 1, vcc
	v_cmp_eq_u32_e32 vcc, 3, v14
	s_nop 1
	v_cndmask_b32_e64 v14, 0, 1, vcc
	v_or_b32_e32 v14, v14, v15
	v_add_u32_e32 v3, v3, v14
	v_mov_b32_e32 v14, 0x7c00
	v_cmp_gt_i32_e32 vcc, 31, v7
	v_mov_b32_e32 v15, 0x7e00
	s_nop 0
	v_cndmask_b32_e32 v3, v14, v3, vcc
	v_cmp_ne_u32_e32 vcc, 0, v2
	s_nop 1
	v_cndmask_b32_e32 v2, v14, v15, vcc
	v_cmp_eq_u32_e32 vcc, s0, v7
	s_mov_b32 s0, 0x8000
	s_nop 0
	v_cndmask_b32_e32 v2, v3, v2, vcc
	v_and_b32_sdwa v3, v1, s0 dst_sel:DWORD dst_unused:UNUSED_PAD src0_sel:WORD_1 src1_sel:DWORD
	s_mov_b32 s0, 0xffff
	v_bitop3_b32 v2, v3, s0, v2 bitop3:0xc8
	global_store_dword v[10:11], v2, off
.LBB8_1772:
	s_mov_b64 s[0:1], 0
.LBB8_1773:
	s_andn2_b64 vcc, exec, s[0:1]
	s_cbranch_vccnz .LBB8_1782
; %bb.1774:
	s_cmp_lt_i32 s6, 6
	s_mov_b64 s[0:1], -1
	s_cbranch_scc1 .LBB8_1780
; %bb.1775:
	s_cmp_gt_i32 s6, 6
	s_cbranch_scc0 .LBB8_1777
; %bb.1776:
	global_store_dwordx2 v[10:11], v[0:1], off
	s_mov_b64 s[0:1], 0
.LBB8_1777:
	s_andn2_b64 vcc, exec, s[0:1]
	s_cbranch_vccnz .LBB8_1779
; %bb.1778:
	v_cvt_f32_f64_e32 v2, v[0:1]
	global_store_dword v[10:11], v2, off
.LBB8_1779:
	s_mov_b64 s[0:1], 0
.LBB8_1780:
	s_andn2_b64 vcc, exec, s[0:1]
	s_cbranch_vccnz .LBB8_1782
; %bb.1781:
	s_movk_i32 s0, 0x1ff
	v_and_or_b32 v2, v1, s0, v0
	v_cmp_ne_u32_e32 vcc, 0, v2
	v_lshrrev_b32_e32 v3, 8, v1
	s_movk_i32 s0, 0xffe
	v_cndmask_b32_e64 v2, 0, 1, vcc
	v_bfe_u32 v7, v1, 20, 11
	v_and_or_b32 v2, v3, s0, v2
	v_sub_u32_e32 v14, 0x3f1, v7
	v_or_b32_e32 v3, 0x1000, v2
	v_med3_i32 v14, v14, 0, 13
	v_lshrrev_b32_e32 v15, v14, v3
	v_lshlrev_b32_e32 v14, v14, v15
	v_cmp_ne_u32_e32 vcc, v14, v3
	v_add_u32_e32 v7, 0xfffffc10, v7
	v_lshl_or_b32 v14, v7, 12, v2
	v_cndmask_b32_e64 v3, 0, 1, vcc
	v_or_b32_e32 v3, v15, v3
	v_cmp_gt_i32_e32 vcc, 1, v7
	s_movk_i32 s0, 0x40f
	s_nop 0
	v_cndmask_b32_e32 v3, v14, v3, vcc
	v_and_b32_e32 v14, 7, v3
	v_cmp_lt_i32_e32 vcc, 5, v14
	v_lshrrev_b32_e32 v3, 2, v3
	s_nop 0
	v_cndmask_b32_e64 v15, 0, 1, vcc
	v_cmp_eq_u32_e32 vcc, 3, v14
	s_nop 1
	v_cndmask_b32_e64 v14, 0, 1, vcc
	v_or_b32_e32 v14, v14, v15
	v_add_u32_e32 v3, v3, v14
	v_mov_b32_e32 v14, 0x7c00
	v_cmp_gt_i32_e32 vcc, 31, v7
	v_mov_b32_e32 v15, 0x7e00
	s_nop 0
	v_cndmask_b32_e32 v3, v14, v3, vcc
	v_cmp_ne_u32_e32 vcc, 0, v2
	s_nop 1
	v_cndmask_b32_e32 v2, v14, v15, vcc
	v_cmp_eq_u32_e32 vcc, s0, v7
	s_mov_b32 s0, 0x8000
	s_nop 0
	v_cndmask_b32_e32 v2, v3, v2, vcc
	v_lshrrev_b32_e32 v3, 16, v1
	v_and_or_b32 v2, v3, s0, v2
	global_store_short v[10:11], v2, off
.LBB8_1782:
	s_mov_b64 s[0:1], 0
.LBB8_1783:
	s_andn2_b64 vcc, exec, s[0:1]
	s_cbranch_vccnz .LBB8_1799
; %bb.1784:
	s_cmp_lt_i32 s6, 2
	s_mov_b64 s[0:1], -1
	s_cbranch_scc1 .LBB8_1794
; %bb.1785:
	s_cmp_lt_i32 s6, 3
	s_cbranch_scc1 .LBB8_1791
; %bb.1786:
	s_cmp_gt_i32 s6, 3
	s_cbranch_scc0 .LBB8_1788
; %bb.1787:
	v_trunc_f64_e32 v[2:3], v[0:1]
	s_movk_i32 s0, 0xffe0
	v_ldexp_f64 v[14:15], v[2:3], s0
	v_floor_f64_e32 v[14:15], v[14:15]
	v_fmac_f64_e32 v[2:3], 0xc1f00000, v[14:15]
	v_cvt_i32_f64_e32 v17, v[14:15]
	v_cvt_u32_f64_e32 v16, v[2:3]
	global_store_dwordx2 v[10:11], v[16:17], off
	s_mov_b64 s[0:1], 0
.LBB8_1788:
	s_andn2_b64 vcc, exec, s[0:1]
	s_cbranch_vccnz .LBB8_1790
; %bb.1789:
	v_cvt_i32_f64_e32 v2, v[0:1]
	global_store_dword v[10:11], v2, off
.LBB8_1790:
	s_mov_b64 s[0:1], 0
.LBB8_1791:
	s_andn2_b64 vcc, exec, s[0:1]
	s_cbranch_vccnz .LBB8_1793
; %bb.1792:
	v_cvt_i32_f64_e32 v2, v[0:1]
	global_store_short v[10:11], v2, off
.LBB8_1793:
	s_mov_b64 s[0:1], 0
.LBB8_1794:
	s_andn2_b64 vcc, exec, s[0:1]
	s_cbranch_vccnz .LBB8_1799
; %bb.1795:
	s_cmp_gt_i32 s6, 0
	s_mov_b64 s[0:1], -1
	s_cbranch_scc0 .LBB8_1797
; %bb.1796:
	v_cvt_i32_f64_e32 v2, v[0:1]
	global_store_byte v[10:11], v2, off
	s_mov_b64 s[0:1], 0
.LBB8_1797:
	s_andn2_b64 vcc, exec, s[0:1]
	s_cbranch_vccnz .LBB8_1799
; %bb.1798:
	v_trunc_f64_e32 v[0:1], v[0:1]
	s_movk_i32 s0, 0xffe0
	v_ldexp_f64 v[2:3], v[0:1], s0
	v_floor_f64_e32 v[2:3], v[2:3]
	v_fmac_f64_e32 v[0:1], 0xc1f00000, v[2:3]
	v_cvt_u32_f64_e32 v0, v[0:1]
	global_store_byte v[10:11], v0, off
.LBB8_1799:
	s_mov_b64 s[10:11], -1
.LBB8_1800:
	s_andn2_b64 vcc, exec, s[10:11]
	s_cbranch_vccnz .LBB8_2115
; %bb.1801:
	s_lshl_b32 s18, s8, 7
	v_add_u32_e32 v0, s18, v6
	v_ashrrev_i32_e32 v1, 31, v0
	s_cmp_lt_i32 s20, 11
	v_lshl_add_u64 v[2:3], s[4:5], 0, v[0:1]
	s_cbranch_scc1 .LBB8_1879
; %bb.1802:
	s_and_b32 s19, 0xffff, s20
	s_mov_b64 s[10:11], -1
	s_mov_b64 s[6:7], 0
	s_cmp_gt_i32 s19, 25
	s_mov_b64 s[8:9], 0
	s_mov_b64 s[0:1], 0
	s_cbranch_scc0 .LBB8_1835
; %bb.1803:
	s_cmp_gt_i32 s19, 28
	s_cbranch_scc0 .LBB8_1818
; %bb.1804:
	s_cmp_gt_i32 s19, 43
	;; [unrolled: 3-line block ×3, first 2 shown]
	s_cbranch_scc0 .LBB8_1808
; %bb.1806:
	s_mov_b64 s[0:1], -1
	s_mov_b64 s[10:11], 0
	s_cmp_eq_u32 s19, 46
	s_cbranch_scc0 .LBB8_1808
; %bb.1807:
	v_cvt_f32_f64_e32 v1, v[4:5]
	v_bfe_u32 v6, v1, 16, 1
	s_movk_i32 s0, 0x7fff
	v_add3_u32 v6, v1, v6, s0
	v_cmp_o_f32_e32 vcc, v1, v1
	v_mov_b32_e32 v1, 0x7fc0
	s_mov_b64 s[0:1], 0
	v_cndmask_b32_sdwa v1, v1, v6, vcc dst_sel:DWORD dst_unused:UNUSED_PAD src0_sel:DWORD src1_sel:WORD_1
	global_store_dword v[2:3], v1, off
	s_mov_b64 s[8:9], -1
.LBB8_1808:
	s_and_b64 vcc, exec, s[10:11]
	s_cbranch_vccz .LBB8_1813
; %bb.1809:
	s_cmp_eq_u32 s19, 44
	s_mov_b64 s[0:1], -1
	s_cbranch_scc0 .LBB8_1813
; %bb.1810:
	v_cvt_f32_f64_e32 v1, v[4:5]
	v_bfe_u32 v6, v1, 23, 8
	s_movk_i32 s0, 0xff
	v_cmp_ne_u32_e32 vcc, s0, v6
	v_mov_b32_e32 v7, 0xff
	s_and_saveexec_b64 s[8:9], vcc
; %bb.1811:
	s_mov_b32 s0, 0x3fffff
	v_lshrrev_b32_e32 v7, 23, v1
	v_and_b32_e32 v10, 0x400000, v1
	v_and_or_b32 v1, v1, s0, v6
	v_cmp_ne_u32_e32 vcc, 0, v10
	v_cmp_ne_u32_e64 s[0:1], 0, v1
	s_and_b64 s[0:1], vcc, s[0:1]
	s_nop 0
	v_cndmask_b32_e64 v1, 0, 1, s[0:1]
	v_add_u32_e32 v7, v7, v1
; %bb.1812:
	s_or_b64 exec, exec, s[8:9]
	s_mov_b64 s[0:1], 0
	s_mov_b64 s[8:9], -1
	global_store_byte v[2:3], v7, off
.LBB8_1813:
	s_mov_b64 s[10:11], 0
.LBB8_1814:
	s_and_b64 vcc, exec, s[10:11]
	s_cbranch_vccz .LBB8_1817
; %bb.1815:
	s_cmp_eq_u32 s19, 29
	s_mov_b64 s[0:1], -1
	s_cbranch_scc0 .LBB8_1817
; %bb.1816:
	v_trunc_f64_e32 v[6:7], v[4:5]
	s_movk_i32 s0, 0xffe0
	v_ldexp_f64 v[10:11], v[6:7], s0
	v_floor_f64_e32 v[10:11], v[10:11]
	v_fmac_f64_e32 v[6:7], 0xc1f00000, v[10:11]
	v_cvt_u32_f64_e32 v15, v[10:11]
	v_cvt_u32_f64_e32 v14, v[6:7]
	global_store_dwordx2 v[2:3], v[14:15], off
	s_mov_b64 s[0:1], 0
	s_mov_b64 s[8:9], -1
.LBB8_1817:
	s_mov_b64 s[10:11], 0
.LBB8_1818:
	s_and_b64 vcc, exec, s[10:11]
	s_cbranch_vccz .LBB8_1834
; %bb.1819:
	s_cmp_lt_i32 s19, 27
	s_mov_b64 s[8:9], -1
	s_cbranch_scc1 .LBB8_1825
; %bb.1820:
	s_cmp_gt_i32 s19, 27
	v_cvt_u32_f64_e32 v1, v[4:5]
	s_cbranch_scc0 .LBB8_1822
; %bb.1821:
	s_mov_b64 s[8:9], 0
	global_store_dword v[2:3], v1, off
.LBB8_1822:
	s_andn2_b64 vcc, exec, s[8:9]
	s_cbranch_vccnz .LBB8_1824
; %bb.1823:
	global_store_short v[2:3], v1, off
.LBB8_1824:
	s_mov_b64 s[8:9], 0
.LBB8_1825:
	s_andn2_b64 vcc, exec, s[8:9]
	s_cbranch_vccnz .LBB8_1833
; %bb.1826:
	v_cvt_f32_f64_e32 v1, v[4:5]
	v_and_b32_e32 v6, 0x7fffffff, v1
	s_mov_b32 s8, 0x43800000
	v_cmp_gt_u32_e32 vcc, s8, v6
	v_mov_b32_e32 v7, 0x80
	s_and_saveexec_b64 s[8:9], vcc
	s_cbranch_execz .LBB8_1832
; %bb.1827:
	s_mov_b32 s10, 0x3bffffff
	v_cmp_lt_u32_e32 vcc, s10, v6
	s_mov_b64 s[10:11], 0
                                        ; implicit-def: $vgpr6
	s_and_saveexec_b64 s[16:17], vcc
	s_xor_b64 s[16:17], exec, s[16:17]
	s_cbranch_execz .LBB8_2123
; %bb.1828:
	v_bfe_u32 v6, v1, 20, 1
	s_mov_b32 s21, 0x487ffff
	v_add3_u32 v6, v1, v6, s21
	s_mov_b64 s[10:11], exec
	v_lshrrev_b32_e32 v6, 20, v6
	s_andn2_saveexec_b64 s[16:17], s[16:17]
	s_cbranch_execnz .LBB8_2124
.LBB8_1829:
	s_or_b64 exec, exec, s[16:17]
	v_mov_b32_e32 v7, 0
	s_and_saveexec_b64 s[16:17], s[10:11]
.LBB8_1830:
	v_lshrrev_b32_e32 v1, 24, v1
	s_movk_i32 s10, 0x80
	v_and_or_b32 v7, v1, s10, v6
.LBB8_1831:
	s_or_b64 exec, exec, s[16:17]
.LBB8_1832:
	s_or_b64 exec, exec, s[8:9]
	global_store_byte v[2:3], v7, off
.LBB8_1833:
	s_mov_b64 s[8:9], -1
.LBB8_1834:
	s_mov_b64 s[10:11], 0
.LBB8_1835:
	s_and_b64 vcc, exec, s[10:11]
	s_cbranch_vccz .LBB8_1875
; %bb.1836:
	s_cmp_gt_i32 s19, 22
	s_mov_b64 s[6:7], -1
	s_cbranch_scc0 .LBB8_1868
; %bb.1837:
	s_cmp_lt_i32 s19, 24
	s_cbranch_scc1 .LBB8_1857
; %bb.1838:
	s_cmp_gt_i32 s19, 24
	s_cbranch_scc0 .LBB8_1846
; %bb.1839:
	v_cvt_f32_f64_e32 v1, v[4:5]
	v_and_b32_e32 v6, 0x7fffffff, v1
	s_mov_b32 s6, 0x47800000
	v_cmp_gt_u32_e32 vcc, s6, v6
	v_mov_b32_e32 v7, 0x80
	s_and_saveexec_b64 s[6:7], vcc
	s_cbranch_execz .LBB8_1845
; %bb.1840:
	s_mov_b32 s8, 0x37ffffff
	v_cmp_lt_u32_e32 vcc, s8, v6
	s_mov_b64 s[8:9], 0
                                        ; implicit-def: $vgpr6
	s_and_saveexec_b64 s[10:11], vcc
	s_xor_b64 s[10:11], exec, s[10:11]
	s_cbranch_execz .LBB8_2126
; %bb.1841:
	v_bfe_u32 v6, v1, 21, 1
	s_mov_b32 s16, 0x88fffff
	v_add3_u32 v6, v1, v6, s16
	s_mov_b64 s[8:9], exec
	v_lshrrev_b32_e32 v6, 21, v6
	s_andn2_saveexec_b64 s[10:11], s[10:11]
	s_cbranch_execnz .LBB8_2127
.LBB8_1842:
	s_or_b64 exec, exec, s[10:11]
	v_mov_b32_e32 v7, 0
	s_and_saveexec_b64 s[10:11], s[8:9]
.LBB8_1843:
	v_lshrrev_b32_e32 v1, 24, v1
	s_movk_i32 s8, 0x80
	v_and_or_b32 v7, v1, s8, v6
.LBB8_1844:
	s_or_b64 exec, exec, s[10:11]
.LBB8_1845:
	s_or_b64 exec, exec, s[6:7]
	s_mov_b64 s[6:7], 0
	global_store_byte v[2:3], v7, off
.LBB8_1846:
	s_and_b64 vcc, exec, s[6:7]
	s_cbranch_vccz .LBB8_1856
; %bb.1847:
	v_cvt_f32_f64_e32 v1, v[4:5]
	v_and_b32_e32 v7, 0x7fffffff, v1
	s_mov_b32 s6, 0x43f00000
	v_cmp_gt_u32_e32 vcc, s6, v7
                                        ; implicit-def: $vgpr6
	s_and_saveexec_b64 s[6:7], vcc
	s_xor_b64 s[6:7], exec, s[6:7]
	s_cbranch_execz .LBB8_1853
; %bb.1848:
	s_mov_b32 s8, 0x3c7fffff
	v_cmp_lt_u32_e32 vcc, s8, v7
                                        ; implicit-def: $vgpr6
	s_and_saveexec_b64 s[8:9], vcc
	s_xor_b64 s[8:9], exec, s[8:9]
; %bb.1849:
	v_bfe_u32 v6, v1, 20, 1
	s_mov_b32 s10, 0x407ffff
	v_add3_u32 v6, v1, v6, s10
	v_lshrrev_b32_e32 v7, 20, v6
	v_and_b32_e32 v6, 0xff00000, v6
	s_mov_b32 s10, 0x7f00000
	v_mov_b32_e32 v10, 0x7e
	v_cmp_ne_u32_e32 vcc, s10, v6
	s_nop 1
	v_cndmask_b32_e32 v6, v10, v7, vcc
; %bb.1850:
	s_andn2_saveexec_b64 s[8:9], s[8:9]
; %bb.1851:
	s_mov_b32 s10, 0x46800000
	v_add_f32_e64 v6, |v1|, s10
; %bb.1852:
	s_or_b64 exec, exec, s[8:9]
                                        ; implicit-def: $vgpr7
.LBB8_1853:
	s_andn2_saveexec_b64 s[6:7], s[6:7]
; %bb.1854:
	s_mov_b32 s8, 0x7f800000
	v_mov_b32_e32 v6, 0x7e
	v_mov_b32_e32 v10, 0x7f
	v_cmp_lt_u32_e32 vcc, s8, v7
	s_nop 1
	v_cndmask_b32_e32 v6, v6, v10, vcc
; %bb.1855:
	s_or_b64 exec, exec, s[6:7]
	v_lshrrev_b32_e32 v1, 24, v1
	s_movk_i32 s6, 0x80
	v_and_or_b32 v1, v1, s6, v6
	global_store_byte v[2:3], v1, off
.LBB8_1856:
	s_mov_b64 s[6:7], 0
.LBB8_1857:
	s_andn2_b64 vcc, exec, s[6:7]
	s_cbranch_vccnz .LBB8_1867
; %bb.1858:
	v_cvt_f32_f64_e32 v1, v[4:5]
	v_and_b32_e32 v7, 0x7fffffff, v1
	s_mov_b32 s6, 0x47800000
	v_cmp_gt_u32_e32 vcc, s6, v7
                                        ; implicit-def: $vgpr6
	s_and_saveexec_b64 s[6:7], vcc
	s_xor_b64 s[6:7], exec, s[6:7]
	s_cbranch_execz .LBB8_1864
; %bb.1859:
	s_mov_b32 s8, 0x387fffff
	v_cmp_lt_u32_e32 vcc, s8, v7
                                        ; implicit-def: $vgpr6
	s_and_saveexec_b64 s[8:9], vcc
	s_xor_b64 s[8:9], exec, s[8:9]
; %bb.1860:
	v_bfe_u32 v6, v1, 21, 1
	s_mov_b32 s10, 0x80fffff
	v_add3_u32 v6, v1, v6, s10
	v_lshrrev_b32_e32 v6, 21, v6
; %bb.1861:
	s_andn2_saveexec_b64 s[8:9], s[8:9]
; %bb.1862:
	s_mov_b32 s10, 0x43000000
	v_add_f32_e64 v6, |v1|, s10
; %bb.1863:
	s_or_b64 exec, exec, s[8:9]
                                        ; implicit-def: $vgpr7
.LBB8_1864:
	s_andn2_saveexec_b64 s[6:7], s[6:7]
; %bb.1865:
	s_mov_b32 s8, 0x7f800000
	v_mov_b32_e32 v6, 0x7c
	v_mov_b32_e32 v10, 0x7f
	v_cmp_lt_u32_e32 vcc, s8, v7
	s_nop 1
	v_cndmask_b32_e32 v6, v6, v10, vcc
; %bb.1866:
	s_or_b64 exec, exec, s[6:7]
	v_lshrrev_b32_e32 v1, 24, v1
	s_movk_i32 s6, 0x80
	v_and_or_b32 v1, v1, s6, v6
	global_store_byte v[2:3], v1, off
.LBB8_1867:
	s_mov_b64 s[6:7], 0
	s_mov_b64 s[8:9], -1
.LBB8_1868:
	s_andn2_b64 vcc, exec, s[6:7]
	s_mov_b64 s[6:7], 0
	s_cbranch_vccnz .LBB8_1875
; %bb.1869:
	s_cmp_gt_i32 s19, 14
	s_mov_b64 s[10:11], -1
	s_cbranch_scc0 .LBB8_1873
; %bb.1870:
	s_cmp_eq_u32 s19, 15
	s_mov_b64 s[0:1], -1
	s_cbranch_scc0 .LBB8_1872
; %bb.1871:
	v_cvt_f32_f64_e32 v1, v[4:5]
	v_bfe_u32 v6, v1, 16, 1
	s_movk_i32 s0, 0x7fff
	v_add3_u32 v6, v1, v6, s0
	v_cmp_o_f32_e32 vcc, v1, v1
	v_mov_b32_e32 v1, 0x7fc0
	s_mov_b64 s[0:1], 0
	v_cndmask_b32_sdwa v1, v1, v6, vcc dst_sel:DWORD dst_unused:UNUSED_PAD src0_sel:DWORD src1_sel:WORD_1
	global_store_short v[2:3], v1, off
	s_mov_b64 s[8:9], -1
.LBB8_1872:
	s_mov_b64 s[10:11], 0
.LBB8_1873:
	s_and_b64 vcc, exec, s[10:11]
	s_cbranch_vccz .LBB8_1875
; %bb.1874:
	s_cmp_lg_u32 s19, 11
	s_mov_b64 s[6:7], -1
	s_cselect_b64 s[0:1], -1, 0
.LBB8_1875:
	s_and_b64 vcc, exec, s[0:1]
	s_cbranch_vccnz .LBB8_2125
; %bb.1876:
	s_andn2_b64 vcc, exec, s[6:7]
	s_cbranch_vccnz .LBB8_1878
.LBB8_1877:
	v_cmp_neq_f64_e32 vcc, 0, v[4:5]
	s_mov_b64 s[8:9], -1
	s_nop 0
	v_cndmask_b32_e64 v1, 0, 1, vcc
	global_store_byte v[2:3], v1, off
.LBB8_1878:
	s_mov_b64 s[0:1], 0
	s_branch .LBB8_1880
.LBB8_1879:
	s_mov_b64 s[0:1], -1
	s_mov_b64 s[8:9], 0
.LBB8_1880:
	s_and_b64 vcc, exec, s[0:1]
	s_cbranch_vccz .LBB8_1919
; %bb.1881:
	s_and_b32 s6, 0xffff, s20
	s_cmp_lt_i32 s6, 5
	s_mov_b64 s[0:1], -1
	s_cbranch_scc1 .LBB8_1902
; %bb.1882:
	s_cmp_lt_i32 s6, 8
	s_cbranch_scc1 .LBB8_1892
; %bb.1883:
	s_cmp_lt_i32 s6, 9
	s_cbranch_scc1 .LBB8_1889
; %bb.1884:
	s_cmp_gt_i32 s6, 9
	s_cbranch_scc0 .LBB8_1886
; %bb.1885:
	v_mov_b32_e32 v6, 0
	v_mov_b32_e32 v7, v6
	global_store_dwordx4 v[2:3], v[4:7], off
	s_mov_b64 s[0:1], 0
.LBB8_1886:
	s_andn2_b64 vcc, exec, s[0:1]
	s_cbranch_vccnz .LBB8_1888
; %bb.1887:
	v_cvt_f32_f64_e32 v6, v[4:5]
	v_mov_b32_e32 v7, 0
	global_store_dwordx2 v[2:3], v[6:7], off
.LBB8_1888:
	s_mov_b64 s[0:1], 0
.LBB8_1889:
	s_andn2_b64 vcc, exec, s[0:1]
	s_cbranch_vccnz .LBB8_1891
; %bb.1890:
	s_movk_i32 s0, 0x1ff
	v_and_or_b32 v1, v5, s0, v4
	v_cmp_ne_u32_e32 vcc, 0, v1
	v_lshrrev_b32_e32 v6, 8, v5
	s_movk_i32 s0, 0xffe
	v_cndmask_b32_e64 v1, 0, 1, vcc
	v_bfe_u32 v7, v5, 20, 11
	v_and_or_b32 v1, v6, s0, v1
	v_sub_u32_e32 v10, 0x3f1, v7
	v_or_b32_e32 v6, 0x1000, v1
	v_med3_i32 v10, v10, 0, 13
	v_lshrrev_b32_e32 v11, v10, v6
	v_lshlrev_b32_e32 v10, v10, v11
	v_cmp_ne_u32_e32 vcc, v10, v6
	v_add_u32_e32 v7, 0xfffffc10, v7
	v_lshl_or_b32 v10, v7, 12, v1
	v_cndmask_b32_e64 v6, 0, 1, vcc
	v_or_b32_e32 v6, v11, v6
	v_cmp_gt_i32_e32 vcc, 1, v7
	s_movk_i32 s0, 0x40f
	s_nop 0
	v_cndmask_b32_e32 v6, v10, v6, vcc
	v_and_b32_e32 v10, 7, v6
	v_cmp_lt_i32_e32 vcc, 5, v10
	v_lshrrev_b32_e32 v6, 2, v6
	s_nop 0
	v_cndmask_b32_e64 v11, 0, 1, vcc
	v_cmp_eq_u32_e32 vcc, 3, v10
	s_nop 1
	v_cndmask_b32_e64 v10, 0, 1, vcc
	v_or_b32_e32 v10, v10, v11
	v_add_u32_e32 v6, v6, v10
	v_mov_b32_e32 v10, 0x7c00
	v_cmp_gt_i32_e32 vcc, 31, v7
	v_mov_b32_e32 v11, 0x7e00
	s_nop 0
	v_cndmask_b32_e32 v6, v10, v6, vcc
	v_cmp_ne_u32_e32 vcc, 0, v1
	s_nop 1
	v_cndmask_b32_e32 v1, v10, v11, vcc
	v_cmp_eq_u32_e32 vcc, s0, v7
	s_mov_b32 s0, 0x8000
	s_nop 0
	v_cndmask_b32_e32 v1, v6, v1, vcc
	v_and_b32_sdwa v6, v5, s0 dst_sel:DWORD dst_unused:UNUSED_PAD src0_sel:WORD_1 src1_sel:DWORD
	s_mov_b32 s0, 0xffff
	v_bitop3_b32 v1, v6, s0, v1 bitop3:0xc8
	global_store_dword v[2:3], v1, off
.LBB8_1891:
	s_mov_b64 s[0:1], 0
.LBB8_1892:
	s_andn2_b64 vcc, exec, s[0:1]
	s_cbranch_vccnz .LBB8_1901
; %bb.1893:
	s_cmp_lt_i32 s6, 6
	s_mov_b64 s[0:1], -1
	s_cbranch_scc1 .LBB8_1899
; %bb.1894:
	s_cmp_gt_i32 s6, 6
	s_cbranch_scc0 .LBB8_1896
; %bb.1895:
	global_store_dwordx2 v[2:3], v[4:5], off
	s_mov_b64 s[0:1], 0
.LBB8_1896:
	s_andn2_b64 vcc, exec, s[0:1]
	s_cbranch_vccnz .LBB8_1898
; %bb.1897:
	v_cvt_f32_f64_e32 v1, v[4:5]
	global_store_dword v[2:3], v1, off
.LBB8_1898:
	s_mov_b64 s[0:1], 0
.LBB8_1899:
	s_andn2_b64 vcc, exec, s[0:1]
	s_cbranch_vccnz .LBB8_1901
; %bb.1900:
	s_movk_i32 s0, 0x1ff
	v_and_or_b32 v1, v5, s0, v4
	v_cmp_ne_u32_e32 vcc, 0, v1
	v_lshrrev_b32_e32 v6, 8, v5
	s_movk_i32 s0, 0xffe
	v_cndmask_b32_e64 v1, 0, 1, vcc
	v_bfe_u32 v7, v5, 20, 11
	v_and_or_b32 v1, v6, s0, v1
	v_sub_u32_e32 v10, 0x3f1, v7
	v_or_b32_e32 v6, 0x1000, v1
	v_med3_i32 v10, v10, 0, 13
	v_lshrrev_b32_e32 v11, v10, v6
	v_lshlrev_b32_e32 v10, v10, v11
	v_cmp_ne_u32_e32 vcc, v10, v6
	v_add_u32_e32 v7, 0xfffffc10, v7
	v_lshl_or_b32 v10, v7, 12, v1
	v_cndmask_b32_e64 v6, 0, 1, vcc
	v_or_b32_e32 v6, v11, v6
	v_cmp_gt_i32_e32 vcc, 1, v7
	s_movk_i32 s0, 0x40f
	s_nop 0
	v_cndmask_b32_e32 v6, v10, v6, vcc
	v_and_b32_e32 v10, 7, v6
	v_cmp_lt_i32_e32 vcc, 5, v10
	v_lshrrev_b32_e32 v6, 2, v6
	s_nop 0
	v_cndmask_b32_e64 v11, 0, 1, vcc
	v_cmp_eq_u32_e32 vcc, 3, v10
	s_nop 1
	v_cndmask_b32_e64 v10, 0, 1, vcc
	v_or_b32_e32 v10, v10, v11
	v_add_u32_e32 v6, v6, v10
	v_mov_b32_e32 v10, 0x7c00
	v_cmp_gt_i32_e32 vcc, 31, v7
	v_mov_b32_e32 v11, 0x7e00
	s_nop 0
	v_cndmask_b32_e32 v6, v10, v6, vcc
	v_cmp_ne_u32_e32 vcc, 0, v1
	s_nop 1
	v_cndmask_b32_e32 v1, v10, v11, vcc
	v_cmp_eq_u32_e32 vcc, s0, v7
	s_mov_b32 s0, 0x8000
	s_nop 0
	v_cndmask_b32_e32 v1, v6, v1, vcc
	v_lshrrev_b32_e32 v6, 16, v5
	v_and_or_b32 v1, v6, s0, v1
	global_store_short v[2:3], v1, off
.LBB8_1901:
	s_mov_b64 s[0:1], 0
.LBB8_1902:
	s_andn2_b64 vcc, exec, s[0:1]
	s_cbranch_vccnz .LBB8_1918
; %bb.1903:
	s_cmp_lt_i32 s6, 2
	s_mov_b64 s[0:1], -1
	s_cbranch_scc1 .LBB8_1913
; %bb.1904:
	s_cmp_lt_i32 s6, 3
	s_cbranch_scc1 .LBB8_1910
; %bb.1905:
	s_cmp_gt_i32 s6, 3
	s_cbranch_scc0 .LBB8_1907
; %bb.1906:
	v_trunc_f64_e32 v[6:7], v[4:5]
	s_movk_i32 s0, 0xffe0
	v_ldexp_f64 v[10:11], v[6:7], s0
	v_floor_f64_e32 v[10:11], v[10:11]
	v_fmac_f64_e32 v[6:7], 0xc1f00000, v[10:11]
	v_cvt_i32_f64_e32 v15, v[10:11]
	v_cvt_u32_f64_e32 v14, v[6:7]
	global_store_dwordx2 v[2:3], v[14:15], off
	s_mov_b64 s[0:1], 0
.LBB8_1907:
	s_andn2_b64 vcc, exec, s[0:1]
	s_cbranch_vccnz .LBB8_1909
; %bb.1908:
	v_cvt_i32_f64_e32 v1, v[4:5]
	global_store_dword v[2:3], v1, off
.LBB8_1909:
	s_mov_b64 s[0:1], 0
.LBB8_1910:
	s_andn2_b64 vcc, exec, s[0:1]
	s_cbranch_vccnz .LBB8_1912
; %bb.1911:
	v_cvt_i32_f64_e32 v1, v[4:5]
	global_store_short v[2:3], v1, off
.LBB8_1912:
	s_mov_b64 s[0:1], 0
.LBB8_1913:
	s_andn2_b64 vcc, exec, s[0:1]
	s_cbranch_vccnz .LBB8_1918
; %bb.1914:
	s_cmp_gt_i32 s6, 0
	s_mov_b64 s[0:1], -1
	s_cbranch_scc0 .LBB8_1916
; %bb.1915:
	v_cvt_i32_f64_e32 v1, v[4:5]
	global_store_byte v[2:3], v1, off
	s_mov_b64 s[0:1], 0
.LBB8_1916:
	s_andn2_b64 vcc, exec, s[0:1]
	s_cbranch_vccnz .LBB8_1918
; %bb.1917:
	v_trunc_f64_e32 v[4:5], v[4:5]
	s_movk_i32 s0, 0xffe0
	v_ldexp_f64 v[6:7], v[4:5], s0
	v_floor_f64_e32 v[6:7], v[6:7]
	v_fmac_f64_e32 v[4:5], 0xc1f00000, v[6:7]
	v_cvt_u32_f64_e32 v1, v[4:5]
	global_store_byte v[2:3], v1, off
.LBB8_1918:
	s_mov_b64 s[8:9], -1
.LBB8_1919:
	s_andn2_b64 vcc, exec, s[8:9]
	s_cbranch_vccnz .LBB8_2115
; %bb.1920:
	v_add_u32_e32 v0, s18, v0
	v_ashrrev_i32_e32 v1, 31, v0
	s_cmp_lt_i32 s20, 11
	v_lshl_add_u64 v[2:3], s[4:5], 0, v[0:1]
	s_cbranch_scc1 .LBB8_1998
; %bb.1921:
	s_and_b32 s19, 0xffff, s20
	s_mov_b64 s[10:11], -1
	s_mov_b64 s[6:7], 0
	s_cmp_gt_i32 s19, 25
	s_mov_b64 s[8:9], 0
	s_mov_b64 s[0:1], 0
	s_cbranch_scc0 .LBB8_1954
; %bb.1922:
	s_cmp_gt_i32 s19, 28
	s_cbranch_scc0 .LBB8_1937
; %bb.1923:
	s_cmp_gt_i32 s19, 43
	;; [unrolled: 3-line block ×3, first 2 shown]
	s_cbranch_scc0 .LBB8_1927
; %bb.1925:
	s_mov_b64 s[0:1], -1
	s_mov_b64 s[10:11], 0
	s_cmp_eq_u32 s19, 46
	s_cbranch_scc0 .LBB8_1927
; %bb.1926:
	v_cvt_f32_f64_e32 v1, v[8:9]
	v_bfe_u32 v4, v1, 16, 1
	s_movk_i32 s0, 0x7fff
	v_add3_u32 v4, v1, v4, s0
	v_cmp_o_f32_e32 vcc, v1, v1
	v_mov_b32_e32 v1, 0x7fc0
	s_mov_b64 s[0:1], 0
	v_cndmask_b32_sdwa v1, v1, v4, vcc dst_sel:DWORD dst_unused:UNUSED_PAD src0_sel:DWORD src1_sel:WORD_1
	global_store_dword v[2:3], v1, off
	s_mov_b64 s[8:9], -1
.LBB8_1927:
	s_and_b64 vcc, exec, s[10:11]
	s_cbranch_vccz .LBB8_1932
; %bb.1928:
	s_cmp_eq_u32 s19, 44
	s_mov_b64 s[0:1], -1
	s_cbranch_scc0 .LBB8_1932
; %bb.1929:
	v_cvt_f32_f64_e32 v1, v[8:9]
	v_bfe_u32 v4, v1, 23, 8
	s_movk_i32 s0, 0xff
	v_cmp_ne_u32_e32 vcc, s0, v4
	v_mov_b32_e32 v5, 0xff
	s_and_saveexec_b64 s[8:9], vcc
; %bb.1930:
	s_mov_b32 s0, 0x3fffff
	v_lshrrev_b32_e32 v5, 23, v1
	v_and_b32_e32 v6, 0x400000, v1
	v_and_or_b32 v1, v1, s0, v4
	v_cmp_ne_u32_e32 vcc, 0, v6
	v_cmp_ne_u32_e64 s[0:1], 0, v1
	s_and_b64 s[0:1], vcc, s[0:1]
	s_nop 0
	v_cndmask_b32_e64 v1, 0, 1, s[0:1]
	v_add_u32_e32 v5, v5, v1
; %bb.1931:
	s_or_b64 exec, exec, s[8:9]
	s_mov_b64 s[0:1], 0
	s_mov_b64 s[8:9], -1
	global_store_byte v[2:3], v5, off
.LBB8_1932:
	s_mov_b64 s[10:11], 0
.LBB8_1933:
	s_and_b64 vcc, exec, s[10:11]
	s_cbranch_vccz .LBB8_1936
; %bb.1934:
	s_cmp_eq_u32 s19, 29
	s_mov_b64 s[0:1], -1
	s_cbranch_scc0 .LBB8_1936
; %bb.1935:
	v_trunc_f64_e32 v[4:5], v[8:9]
	s_movk_i32 s0, 0xffe0
	v_ldexp_f64 v[6:7], v[4:5], s0
	v_floor_f64_e32 v[6:7], v[6:7]
	v_fmac_f64_e32 v[4:5], 0xc1f00000, v[6:7]
	v_cvt_u32_f64_e32 v11, v[6:7]
	v_cvt_u32_f64_e32 v10, v[4:5]
	global_store_dwordx2 v[2:3], v[10:11], off
	s_mov_b64 s[0:1], 0
	s_mov_b64 s[8:9], -1
.LBB8_1936:
	s_mov_b64 s[10:11], 0
.LBB8_1937:
	s_and_b64 vcc, exec, s[10:11]
	s_cbranch_vccz .LBB8_1953
; %bb.1938:
	s_cmp_lt_i32 s19, 27
	s_mov_b64 s[8:9], -1
	s_cbranch_scc1 .LBB8_1944
; %bb.1939:
	s_cmp_gt_i32 s19, 27
	v_cvt_u32_f64_e32 v1, v[8:9]
	s_cbranch_scc0 .LBB8_1941
; %bb.1940:
	s_mov_b64 s[8:9], 0
	global_store_dword v[2:3], v1, off
.LBB8_1941:
	s_andn2_b64 vcc, exec, s[8:9]
	s_cbranch_vccnz .LBB8_1943
; %bb.1942:
	global_store_short v[2:3], v1, off
.LBB8_1943:
	s_mov_b64 s[8:9], 0
.LBB8_1944:
	s_andn2_b64 vcc, exec, s[8:9]
	s_cbranch_vccnz .LBB8_1952
; %bb.1945:
	v_cvt_f32_f64_e32 v1, v[8:9]
	v_and_b32_e32 v4, 0x7fffffff, v1
	s_mov_b32 s8, 0x43800000
	v_cmp_gt_u32_e32 vcc, s8, v4
	v_mov_b32_e32 v5, 0x80
	s_and_saveexec_b64 s[8:9], vcc
	s_cbranch_execz .LBB8_1951
; %bb.1946:
	s_mov_b32 s10, 0x3bffffff
	v_cmp_lt_u32_e32 vcc, s10, v4
	s_mov_b64 s[10:11], 0
                                        ; implicit-def: $vgpr4
	s_and_saveexec_b64 s[16:17], vcc
	s_xor_b64 s[16:17], exec, s[16:17]
	s_cbranch_execz .LBB8_2128
; %bb.1947:
	v_bfe_u32 v4, v1, 20, 1
	s_mov_b32 s21, 0x487ffff
	v_add3_u32 v4, v1, v4, s21
	s_mov_b64 s[10:11], exec
	v_lshrrev_b32_e32 v4, 20, v4
	s_andn2_saveexec_b64 s[16:17], s[16:17]
	s_cbranch_execnz .LBB8_2129
.LBB8_1948:
	s_or_b64 exec, exec, s[16:17]
	v_mov_b32_e32 v5, 0
	s_and_saveexec_b64 s[16:17], s[10:11]
.LBB8_1949:
	v_lshrrev_b32_e32 v1, 24, v1
	s_movk_i32 s10, 0x80
	v_and_or_b32 v5, v1, s10, v4
.LBB8_1950:
	s_or_b64 exec, exec, s[16:17]
.LBB8_1951:
	s_or_b64 exec, exec, s[8:9]
	global_store_byte v[2:3], v5, off
.LBB8_1952:
	s_mov_b64 s[8:9], -1
.LBB8_1953:
	s_mov_b64 s[10:11], 0
.LBB8_1954:
	s_and_b64 vcc, exec, s[10:11]
	s_cbranch_vccz .LBB8_1994
; %bb.1955:
	s_cmp_gt_i32 s19, 22
	s_mov_b64 s[6:7], -1
	s_cbranch_scc0 .LBB8_1987
; %bb.1956:
	s_cmp_lt_i32 s19, 24
	s_cbranch_scc1 .LBB8_1976
; %bb.1957:
	s_cmp_gt_i32 s19, 24
	s_cbranch_scc0 .LBB8_1965
; %bb.1958:
	v_cvt_f32_f64_e32 v1, v[8:9]
	v_and_b32_e32 v4, 0x7fffffff, v1
	s_mov_b32 s6, 0x47800000
	v_cmp_gt_u32_e32 vcc, s6, v4
	v_mov_b32_e32 v5, 0x80
	s_and_saveexec_b64 s[6:7], vcc
	s_cbranch_execz .LBB8_1964
; %bb.1959:
	s_mov_b32 s8, 0x37ffffff
	v_cmp_lt_u32_e32 vcc, s8, v4
	s_mov_b64 s[8:9], 0
                                        ; implicit-def: $vgpr4
	s_and_saveexec_b64 s[10:11], vcc
	s_xor_b64 s[10:11], exec, s[10:11]
	s_cbranch_execz .LBB8_2131
; %bb.1960:
	v_bfe_u32 v4, v1, 21, 1
	s_mov_b32 s16, 0x88fffff
	v_add3_u32 v4, v1, v4, s16
	s_mov_b64 s[8:9], exec
	v_lshrrev_b32_e32 v4, 21, v4
	s_andn2_saveexec_b64 s[10:11], s[10:11]
	s_cbranch_execnz .LBB8_2132
.LBB8_1961:
	s_or_b64 exec, exec, s[10:11]
	v_mov_b32_e32 v5, 0
	s_and_saveexec_b64 s[10:11], s[8:9]
.LBB8_1962:
	v_lshrrev_b32_e32 v1, 24, v1
	s_movk_i32 s8, 0x80
	v_and_or_b32 v5, v1, s8, v4
.LBB8_1963:
	s_or_b64 exec, exec, s[10:11]
.LBB8_1964:
	s_or_b64 exec, exec, s[6:7]
	s_mov_b64 s[6:7], 0
	global_store_byte v[2:3], v5, off
.LBB8_1965:
	s_and_b64 vcc, exec, s[6:7]
	s_cbranch_vccz .LBB8_1975
; %bb.1966:
	v_cvt_f32_f64_e32 v1, v[8:9]
	v_and_b32_e32 v5, 0x7fffffff, v1
	s_mov_b32 s6, 0x43f00000
	v_cmp_gt_u32_e32 vcc, s6, v5
                                        ; implicit-def: $vgpr4
	s_and_saveexec_b64 s[6:7], vcc
	s_xor_b64 s[6:7], exec, s[6:7]
	s_cbranch_execz .LBB8_1972
; %bb.1967:
	s_mov_b32 s8, 0x3c7fffff
	v_cmp_lt_u32_e32 vcc, s8, v5
                                        ; implicit-def: $vgpr4
	s_and_saveexec_b64 s[8:9], vcc
	s_xor_b64 s[8:9], exec, s[8:9]
; %bb.1968:
	v_bfe_u32 v4, v1, 20, 1
	s_mov_b32 s10, 0x407ffff
	v_add3_u32 v4, v1, v4, s10
	v_lshrrev_b32_e32 v5, 20, v4
	v_and_b32_e32 v4, 0xff00000, v4
	s_mov_b32 s10, 0x7f00000
	v_mov_b32_e32 v6, 0x7e
	v_cmp_ne_u32_e32 vcc, s10, v4
	s_nop 1
	v_cndmask_b32_e32 v4, v6, v5, vcc
; %bb.1969:
	s_andn2_saveexec_b64 s[8:9], s[8:9]
; %bb.1970:
	s_mov_b32 s10, 0x46800000
	v_add_f32_e64 v4, |v1|, s10
; %bb.1971:
	s_or_b64 exec, exec, s[8:9]
                                        ; implicit-def: $vgpr5
.LBB8_1972:
	s_andn2_saveexec_b64 s[6:7], s[6:7]
; %bb.1973:
	s_mov_b32 s8, 0x7f800000
	v_mov_b32_e32 v4, 0x7e
	v_mov_b32_e32 v6, 0x7f
	v_cmp_lt_u32_e32 vcc, s8, v5
	s_nop 1
	v_cndmask_b32_e32 v4, v4, v6, vcc
; %bb.1974:
	s_or_b64 exec, exec, s[6:7]
	v_lshrrev_b32_e32 v1, 24, v1
	s_movk_i32 s6, 0x80
	v_and_or_b32 v1, v1, s6, v4
	global_store_byte v[2:3], v1, off
.LBB8_1975:
	s_mov_b64 s[6:7], 0
.LBB8_1976:
	s_andn2_b64 vcc, exec, s[6:7]
	s_cbranch_vccnz .LBB8_1986
; %bb.1977:
	v_cvt_f32_f64_e32 v1, v[8:9]
	v_and_b32_e32 v5, 0x7fffffff, v1
	s_mov_b32 s6, 0x47800000
	v_cmp_gt_u32_e32 vcc, s6, v5
                                        ; implicit-def: $vgpr4
	s_and_saveexec_b64 s[6:7], vcc
	s_xor_b64 s[6:7], exec, s[6:7]
	s_cbranch_execz .LBB8_1983
; %bb.1978:
	s_mov_b32 s8, 0x387fffff
	v_cmp_lt_u32_e32 vcc, s8, v5
                                        ; implicit-def: $vgpr4
	s_and_saveexec_b64 s[8:9], vcc
	s_xor_b64 s[8:9], exec, s[8:9]
; %bb.1979:
	v_bfe_u32 v4, v1, 21, 1
	s_mov_b32 s10, 0x80fffff
	v_add3_u32 v4, v1, v4, s10
	v_lshrrev_b32_e32 v4, 21, v4
; %bb.1980:
	s_andn2_saveexec_b64 s[8:9], s[8:9]
; %bb.1981:
	s_mov_b32 s10, 0x43000000
	v_add_f32_e64 v4, |v1|, s10
; %bb.1982:
	s_or_b64 exec, exec, s[8:9]
                                        ; implicit-def: $vgpr5
.LBB8_1983:
	s_andn2_saveexec_b64 s[6:7], s[6:7]
; %bb.1984:
	s_mov_b32 s8, 0x7f800000
	v_mov_b32_e32 v4, 0x7c
	v_mov_b32_e32 v6, 0x7f
	v_cmp_lt_u32_e32 vcc, s8, v5
	s_nop 1
	v_cndmask_b32_e32 v4, v4, v6, vcc
; %bb.1985:
	s_or_b64 exec, exec, s[6:7]
	v_lshrrev_b32_e32 v1, 24, v1
	s_movk_i32 s6, 0x80
	v_and_or_b32 v1, v1, s6, v4
	global_store_byte v[2:3], v1, off
.LBB8_1986:
	s_mov_b64 s[6:7], 0
	s_mov_b64 s[8:9], -1
.LBB8_1987:
	s_andn2_b64 vcc, exec, s[6:7]
	s_mov_b64 s[6:7], 0
	s_cbranch_vccnz .LBB8_1994
; %bb.1988:
	s_cmp_gt_i32 s19, 14
	s_mov_b64 s[10:11], -1
	s_cbranch_scc0 .LBB8_1992
; %bb.1989:
	s_cmp_eq_u32 s19, 15
	s_mov_b64 s[0:1], -1
	s_cbranch_scc0 .LBB8_1991
; %bb.1990:
	v_cvt_f32_f64_e32 v1, v[8:9]
	v_bfe_u32 v4, v1, 16, 1
	s_movk_i32 s0, 0x7fff
	v_add3_u32 v4, v1, v4, s0
	v_cmp_o_f32_e32 vcc, v1, v1
	v_mov_b32_e32 v1, 0x7fc0
	s_mov_b64 s[0:1], 0
	v_cndmask_b32_sdwa v1, v1, v4, vcc dst_sel:DWORD dst_unused:UNUSED_PAD src0_sel:DWORD src1_sel:WORD_1
	global_store_short v[2:3], v1, off
	s_mov_b64 s[8:9], -1
.LBB8_1991:
	s_mov_b64 s[10:11], 0
.LBB8_1992:
	s_and_b64 vcc, exec, s[10:11]
	s_cbranch_vccz .LBB8_1994
; %bb.1993:
	s_cmp_lg_u32 s19, 11
	s_mov_b64 s[6:7], -1
	s_cselect_b64 s[0:1], -1, 0
.LBB8_1994:
	s_and_b64 vcc, exec, s[0:1]
	s_cbranch_vccnz .LBB8_2130
; %bb.1995:
	s_andn2_b64 vcc, exec, s[6:7]
	s_cbranch_vccnz .LBB8_1997
.LBB8_1996:
	v_cmp_neq_f64_e32 vcc, 0, v[8:9]
	s_mov_b64 s[8:9], -1
	s_nop 0
	v_cndmask_b32_e64 v1, 0, 1, vcc
	global_store_byte v[2:3], v1, off
.LBB8_1997:
	s_mov_b64 s[0:1], 0
	s_branch .LBB8_1999
.LBB8_1998:
	s_mov_b64 s[0:1], -1
	s_mov_b64 s[8:9], 0
.LBB8_1999:
	s_and_b64 vcc, exec, s[0:1]
	s_cbranch_vccz .LBB8_2038
; %bb.2000:
	s_and_b32 s6, 0xffff, s20
	s_cmp_lt_i32 s6, 5
	s_mov_b64 s[0:1], -1
	s_cbranch_scc1 .LBB8_2021
; %bb.2001:
	s_cmp_lt_i32 s6, 8
	s_cbranch_scc1 .LBB8_2011
; %bb.2002:
	s_cmp_lt_i32 s6, 9
	s_cbranch_scc1 .LBB8_2008
; %bb.2003:
	s_cmp_gt_i32 s6, 9
	s_cbranch_scc0 .LBB8_2005
; %bb.2004:
	v_mov_b32_e32 v10, 0
	v_mov_b32_e32 v11, v10
	global_store_dwordx4 v[2:3], v[8:11], off
	s_mov_b64 s[0:1], 0
.LBB8_2005:
	s_andn2_b64 vcc, exec, s[0:1]
	s_cbranch_vccnz .LBB8_2007
; %bb.2006:
	v_cvt_f32_f64_e32 v4, v[8:9]
	v_mov_b32_e32 v5, 0
	global_store_dwordx2 v[2:3], v[4:5], off
.LBB8_2007:
	s_mov_b64 s[0:1], 0
.LBB8_2008:
	s_andn2_b64 vcc, exec, s[0:1]
	s_cbranch_vccnz .LBB8_2010
; %bb.2009:
	s_movk_i32 s0, 0x1ff
	v_and_or_b32 v1, v9, s0, v8
	v_cmp_ne_u32_e32 vcc, 0, v1
	v_lshrrev_b32_e32 v4, 8, v9
	s_movk_i32 s0, 0xffe
	v_cndmask_b32_e64 v1, 0, 1, vcc
	v_bfe_u32 v5, v9, 20, 11
	v_and_or_b32 v1, v4, s0, v1
	v_sub_u32_e32 v6, 0x3f1, v5
	v_or_b32_e32 v4, 0x1000, v1
	v_med3_i32 v6, v6, 0, 13
	v_lshrrev_b32_e32 v7, v6, v4
	v_lshlrev_b32_e32 v6, v6, v7
	v_cmp_ne_u32_e32 vcc, v6, v4
	v_add_u32_e32 v5, 0xfffffc10, v5
	v_lshl_or_b32 v6, v5, 12, v1
	v_cndmask_b32_e64 v4, 0, 1, vcc
	v_or_b32_e32 v4, v7, v4
	v_cmp_gt_i32_e32 vcc, 1, v5
	s_movk_i32 s0, 0x40f
	s_nop 0
	v_cndmask_b32_e32 v4, v6, v4, vcc
	v_and_b32_e32 v6, 7, v4
	v_cmp_lt_i32_e32 vcc, 5, v6
	v_lshrrev_b32_e32 v4, 2, v4
	s_nop 0
	v_cndmask_b32_e64 v7, 0, 1, vcc
	v_cmp_eq_u32_e32 vcc, 3, v6
	s_nop 1
	v_cndmask_b32_e64 v6, 0, 1, vcc
	v_or_b32_e32 v6, v6, v7
	v_add_u32_e32 v4, v4, v6
	v_mov_b32_e32 v6, 0x7c00
	v_cmp_gt_i32_e32 vcc, 31, v5
	v_mov_b32_e32 v7, 0x7e00
	s_nop 0
	v_cndmask_b32_e32 v4, v6, v4, vcc
	v_cmp_ne_u32_e32 vcc, 0, v1
	s_nop 1
	v_cndmask_b32_e32 v1, v6, v7, vcc
	v_cmp_eq_u32_e32 vcc, s0, v5
	s_mov_b32 s0, 0x8000
	s_nop 0
	v_cndmask_b32_e32 v1, v4, v1, vcc
	v_and_b32_sdwa v4, v9, s0 dst_sel:DWORD dst_unused:UNUSED_PAD src0_sel:WORD_1 src1_sel:DWORD
	s_mov_b32 s0, 0xffff
	v_bitop3_b32 v1, v4, s0, v1 bitop3:0xc8
	global_store_dword v[2:3], v1, off
.LBB8_2010:
	s_mov_b64 s[0:1], 0
.LBB8_2011:
	s_andn2_b64 vcc, exec, s[0:1]
	s_cbranch_vccnz .LBB8_2020
; %bb.2012:
	s_cmp_lt_i32 s6, 6
	s_mov_b64 s[0:1], -1
	s_cbranch_scc1 .LBB8_2018
; %bb.2013:
	s_cmp_gt_i32 s6, 6
	s_cbranch_scc0 .LBB8_2015
; %bb.2014:
	global_store_dwordx2 v[2:3], v[8:9], off
	s_mov_b64 s[0:1], 0
.LBB8_2015:
	s_andn2_b64 vcc, exec, s[0:1]
	s_cbranch_vccnz .LBB8_2017
; %bb.2016:
	v_cvt_f32_f64_e32 v1, v[8:9]
	global_store_dword v[2:3], v1, off
.LBB8_2017:
	s_mov_b64 s[0:1], 0
.LBB8_2018:
	s_andn2_b64 vcc, exec, s[0:1]
	s_cbranch_vccnz .LBB8_2020
; %bb.2019:
	s_movk_i32 s0, 0x1ff
	v_and_or_b32 v1, v9, s0, v8
	v_cmp_ne_u32_e32 vcc, 0, v1
	v_lshrrev_b32_e32 v4, 8, v9
	s_movk_i32 s0, 0xffe
	v_cndmask_b32_e64 v1, 0, 1, vcc
	v_bfe_u32 v5, v9, 20, 11
	v_and_or_b32 v1, v4, s0, v1
	v_sub_u32_e32 v6, 0x3f1, v5
	v_or_b32_e32 v4, 0x1000, v1
	v_med3_i32 v6, v6, 0, 13
	v_lshrrev_b32_e32 v7, v6, v4
	v_lshlrev_b32_e32 v6, v6, v7
	v_cmp_ne_u32_e32 vcc, v6, v4
	v_add_u32_e32 v5, 0xfffffc10, v5
	v_lshl_or_b32 v6, v5, 12, v1
	v_cndmask_b32_e64 v4, 0, 1, vcc
	v_or_b32_e32 v4, v7, v4
	v_cmp_gt_i32_e32 vcc, 1, v5
	s_movk_i32 s0, 0x40f
	s_nop 0
	v_cndmask_b32_e32 v4, v6, v4, vcc
	v_and_b32_e32 v6, 7, v4
	v_cmp_lt_i32_e32 vcc, 5, v6
	v_lshrrev_b32_e32 v4, 2, v4
	s_nop 0
	v_cndmask_b32_e64 v7, 0, 1, vcc
	v_cmp_eq_u32_e32 vcc, 3, v6
	s_nop 1
	v_cndmask_b32_e64 v6, 0, 1, vcc
	v_or_b32_e32 v6, v6, v7
	v_add_u32_e32 v4, v4, v6
	v_mov_b32_e32 v6, 0x7c00
	v_cmp_gt_i32_e32 vcc, 31, v5
	v_mov_b32_e32 v7, 0x7e00
	s_nop 0
	v_cndmask_b32_e32 v4, v6, v4, vcc
	v_cmp_ne_u32_e32 vcc, 0, v1
	s_nop 1
	v_cndmask_b32_e32 v1, v6, v7, vcc
	v_cmp_eq_u32_e32 vcc, s0, v5
	s_mov_b32 s0, 0x8000
	s_nop 0
	v_cndmask_b32_e32 v1, v4, v1, vcc
	v_lshrrev_b32_e32 v4, 16, v9
	v_and_or_b32 v1, v4, s0, v1
	global_store_short v[2:3], v1, off
.LBB8_2020:
	s_mov_b64 s[0:1], 0
.LBB8_2021:
	s_andn2_b64 vcc, exec, s[0:1]
	s_cbranch_vccnz .LBB8_2037
; %bb.2022:
	s_cmp_lt_i32 s6, 2
	s_mov_b64 s[0:1], -1
	s_cbranch_scc1 .LBB8_2032
; %bb.2023:
	s_cmp_lt_i32 s6, 3
	s_cbranch_scc1 .LBB8_2029
; %bb.2024:
	s_cmp_gt_i32 s6, 3
	s_cbranch_scc0 .LBB8_2026
; %bb.2025:
	v_trunc_f64_e32 v[4:5], v[8:9]
	s_movk_i32 s0, 0xffe0
	v_ldexp_f64 v[6:7], v[4:5], s0
	v_floor_f64_e32 v[6:7], v[6:7]
	v_fmac_f64_e32 v[4:5], 0xc1f00000, v[6:7]
	v_cvt_i32_f64_e32 v11, v[6:7]
	v_cvt_u32_f64_e32 v10, v[4:5]
	global_store_dwordx2 v[2:3], v[10:11], off
	s_mov_b64 s[0:1], 0
.LBB8_2026:
	s_andn2_b64 vcc, exec, s[0:1]
	s_cbranch_vccnz .LBB8_2028
; %bb.2027:
	v_cvt_i32_f64_e32 v1, v[8:9]
	global_store_dword v[2:3], v1, off
.LBB8_2028:
	s_mov_b64 s[0:1], 0
.LBB8_2029:
	s_andn2_b64 vcc, exec, s[0:1]
	s_cbranch_vccnz .LBB8_2031
; %bb.2030:
	v_cvt_i32_f64_e32 v1, v[8:9]
	global_store_short v[2:3], v1, off
.LBB8_2031:
	s_mov_b64 s[0:1], 0
.LBB8_2032:
	s_andn2_b64 vcc, exec, s[0:1]
	s_cbranch_vccnz .LBB8_2037
; %bb.2033:
	s_cmp_gt_i32 s6, 0
	s_mov_b64 s[0:1], -1
	s_cbranch_scc0 .LBB8_2035
; %bb.2034:
	v_cvt_i32_f64_e32 v1, v[8:9]
	global_store_byte v[2:3], v1, off
	s_mov_b64 s[0:1], 0
.LBB8_2035:
	s_andn2_b64 vcc, exec, s[0:1]
	s_cbranch_vccnz .LBB8_2037
; %bb.2036:
	v_trunc_f64_e32 v[4:5], v[8:9]
	s_movk_i32 s0, 0xffe0
	v_ldexp_f64 v[6:7], v[4:5], s0
	v_floor_f64_e32 v[6:7], v[6:7]
	v_fmac_f64_e32 v[4:5], 0xc1f00000, v[6:7]
	v_cvt_u32_f64_e32 v1, v[4:5]
	global_store_byte v[2:3], v1, off
.LBB8_2037:
	s_mov_b64 s[8:9], -1
.LBB8_2038:
	s_andn2_b64 vcc, exec, s[8:9]
	s_cbranch_vccnz .LBB8_2115
; %bb.2039:
	v_add_u32_e32 v0, s18, v0
	v_ashrrev_i32_e32 v1, 31, v0
	s_cmp_lt_i32 s20, 11
	v_lshl_add_u64 v[0:1], s[4:5], 0, v[0:1]
	s_cbranch_scc1 .LBB8_2116
; %bb.2040:
	s_and_b32 s16, 0xffff, s20
	s_mov_b64 s[6:7], -1
	s_mov_b64 s[4:5], 0
	s_cmp_gt_i32 s16, 25
	s_mov_b64 s[0:1], 0
	s_cbranch_scc0 .LBB8_2073
; %bb.2041:
	s_cmp_gt_i32 s16, 28
	s_cbranch_scc0 .LBB8_2057
; %bb.2042:
	s_cmp_gt_i32 s16, 43
	;; [unrolled: 3-line block ×3, first 2 shown]
	s_cbranch_scc0 .LBB8_2047
; %bb.2044:
	s_cmp_eq_u32 s16, 46
	s_mov_b64 s[0:1], -1
	s_cbranch_scc0 .LBB8_2046
; %bb.2045:
	v_cvt_f32_f64_e32 v2, v[12:13]
	v_bfe_u32 v3, v2, 16, 1
	s_movk_i32 s0, 0x7fff
	v_add3_u32 v3, v2, v3, s0
	v_cmp_o_f32_e32 vcc, v2, v2
	v_mov_b32_e32 v2, 0x7fc0
	s_mov_b64 s[0:1], 0
	v_cndmask_b32_sdwa v2, v2, v3, vcc dst_sel:DWORD dst_unused:UNUSED_PAD src0_sel:DWORD src1_sel:WORD_1
	global_store_dword v[0:1], v2, off
.LBB8_2046:
	s_mov_b64 s[6:7], 0
.LBB8_2047:
	s_and_b64 vcc, exec, s[6:7]
	s_cbranch_vccz .LBB8_2052
; %bb.2048:
	s_cmp_eq_u32 s16, 44
	s_mov_b64 s[0:1], -1
	s_cbranch_scc0 .LBB8_2052
; %bb.2049:
	v_cvt_f32_f64_e32 v2, v[12:13]
	v_bfe_u32 v3, v2, 23, 8
	s_movk_i32 s0, 0xff
	v_cmp_ne_u32_e32 vcc, s0, v3
	v_mov_b32_e32 v4, 0xff
	s_and_saveexec_b64 s[6:7], vcc
; %bb.2050:
	s_mov_b32 s0, 0x3fffff
	v_lshrrev_b32_e32 v4, 23, v2
	v_and_b32_e32 v5, 0x400000, v2
	v_and_or_b32 v2, v2, s0, v3
	v_cmp_ne_u32_e32 vcc, 0, v5
	v_cmp_ne_u32_e64 s[0:1], 0, v2
	s_and_b64 s[0:1], vcc, s[0:1]
	s_nop 0
	v_cndmask_b32_e64 v2, 0, 1, s[0:1]
	v_add_u32_e32 v4, v4, v2
; %bb.2051:
	s_or_b64 exec, exec, s[6:7]
	s_mov_b64 s[0:1], 0
	global_store_byte v[0:1], v4, off
.LBB8_2052:
	s_mov_b64 s[6:7], 0
.LBB8_2053:
	s_and_b64 vcc, exec, s[6:7]
	s_cbranch_vccz .LBB8_2056
; %bb.2054:
	s_cmp_eq_u32 s16, 29
	s_mov_b64 s[0:1], -1
	s_cbranch_scc0 .LBB8_2056
; %bb.2055:
	v_trunc_f64_e32 v[2:3], v[12:13]
	s_movk_i32 s0, 0xffe0
	v_ldexp_f64 v[4:5], v[2:3], s0
	v_floor_f64_e32 v[4:5], v[4:5]
	v_fmac_f64_e32 v[2:3], 0xc1f00000, v[4:5]
	v_cvt_u32_f64_e32 v7, v[4:5]
	v_cvt_u32_f64_e32 v6, v[2:3]
	global_store_dwordx2 v[0:1], v[6:7], off
	s_mov_b64 s[0:1], 0
.LBB8_2056:
	s_mov_b64 s[6:7], 0
.LBB8_2057:
	s_and_b64 vcc, exec, s[6:7]
	s_cbranch_vccz .LBB8_2072
; %bb.2058:
	s_cmp_lt_i32 s16, 27
	s_mov_b64 s[6:7], -1
	s_cbranch_scc1 .LBB8_2064
; %bb.2059:
	s_cmp_gt_i32 s16, 27
	v_cvt_u32_f64_e32 v2, v[12:13]
	s_cbranch_scc0 .LBB8_2061
; %bb.2060:
	global_store_dword v[0:1], v2, off
	s_mov_b64 s[6:7], 0
.LBB8_2061:
	s_andn2_b64 vcc, exec, s[6:7]
	s_cbranch_vccnz .LBB8_2063
; %bb.2062:
	global_store_short v[0:1], v2, off
.LBB8_2063:
	s_mov_b64 s[6:7], 0
.LBB8_2064:
	s_andn2_b64 vcc, exec, s[6:7]
	s_cbranch_vccnz .LBB8_2072
; %bb.2065:
	v_cvt_f32_f64_e32 v2, v[12:13]
	v_and_b32_e32 v3, 0x7fffffff, v2
	s_mov_b32 s6, 0x43800000
	v_cmp_gt_u32_e32 vcc, s6, v3
	v_mov_b32_e32 v4, 0x80
	s_and_saveexec_b64 s[6:7], vcc
	s_cbranch_execz .LBB8_2071
; %bb.2066:
	s_mov_b32 s8, 0x3bffffff
	v_cmp_lt_u32_e32 vcc, s8, v3
	s_mov_b64 s[8:9], 0
                                        ; implicit-def: $vgpr3
	s_and_saveexec_b64 s[10:11], vcc
	s_xor_b64 s[10:11], exec, s[10:11]
	s_cbranch_execz .LBB8_2133
; %bb.2067:
	v_bfe_u32 v3, v2, 20, 1
	s_mov_b32 s17, 0x487ffff
	v_add3_u32 v3, v2, v3, s17
	s_mov_b64 s[8:9], exec
	v_lshrrev_b32_e32 v3, 20, v3
	s_andn2_saveexec_b64 s[10:11], s[10:11]
	s_cbranch_execnz .LBB8_2134
.LBB8_2068:
	s_or_b64 exec, exec, s[10:11]
	v_mov_b32_e32 v4, 0
	s_and_saveexec_b64 s[10:11], s[8:9]
.LBB8_2069:
	v_lshrrev_b32_e32 v2, 24, v2
	s_movk_i32 s8, 0x80
	v_and_or_b32 v4, v2, s8, v3
.LBB8_2070:
	s_or_b64 exec, exec, s[10:11]
.LBB8_2071:
	s_or_b64 exec, exec, s[6:7]
	global_store_byte v[0:1], v4, off
.LBB8_2072:
	s_mov_b64 s[6:7], 0
.LBB8_2073:
	s_and_b64 vcc, exec, s[6:7]
	s_cbranch_vccz .LBB8_2113
; %bb.2074:
	s_cmp_gt_i32 s16, 22
	s_mov_b64 s[4:5], -1
	s_cbranch_scc0 .LBB8_2106
; %bb.2075:
	s_cmp_lt_i32 s16, 24
	s_cbranch_scc1 .LBB8_2095
; %bb.2076:
	s_cmp_gt_i32 s16, 24
	s_cbranch_scc0 .LBB8_2084
; %bb.2077:
	v_cvt_f32_f64_e32 v2, v[12:13]
	v_and_b32_e32 v3, 0x7fffffff, v2
	s_mov_b32 s4, 0x47800000
	v_cmp_gt_u32_e32 vcc, s4, v3
	v_mov_b32_e32 v4, 0x80
	s_and_saveexec_b64 s[4:5], vcc
	s_cbranch_execz .LBB8_2083
; %bb.2078:
	s_mov_b32 s6, 0x37ffffff
	v_cmp_lt_u32_e32 vcc, s6, v3
	s_mov_b64 s[6:7], 0
                                        ; implicit-def: $vgpr3
	s_and_saveexec_b64 s[8:9], vcc
	s_xor_b64 s[8:9], exec, s[8:9]
	s_cbranch_execz .LBB8_2136
; %bb.2079:
	v_bfe_u32 v3, v2, 21, 1
	s_mov_b32 s10, 0x88fffff
	v_add3_u32 v3, v2, v3, s10
	s_mov_b64 s[6:7], exec
	v_lshrrev_b32_e32 v3, 21, v3
	s_andn2_saveexec_b64 s[8:9], s[8:9]
	s_cbranch_execnz .LBB8_2137
.LBB8_2080:
	s_or_b64 exec, exec, s[8:9]
	v_mov_b32_e32 v4, 0
	s_and_saveexec_b64 s[8:9], s[6:7]
.LBB8_2081:
	v_lshrrev_b32_e32 v2, 24, v2
	s_movk_i32 s6, 0x80
	v_and_or_b32 v4, v2, s6, v3
.LBB8_2082:
	s_or_b64 exec, exec, s[8:9]
.LBB8_2083:
	s_or_b64 exec, exec, s[4:5]
	s_mov_b64 s[4:5], 0
	global_store_byte v[0:1], v4, off
.LBB8_2084:
	s_and_b64 vcc, exec, s[4:5]
	s_cbranch_vccz .LBB8_2094
; %bb.2085:
	v_cvt_f32_f64_e32 v2, v[12:13]
	v_and_b32_e32 v4, 0x7fffffff, v2
	s_mov_b32 s4, 0x43f00000
	v_cmp_gt_u32_e32 vcc, s4, v4
                                        ; implicit-def: $vgpr3
	s_and_saveexec_b64 s[4:5], vcc
	s_xor_b64 s[4:5], exec, s[4:5]
	s_cbranch_execz .LBB8_2091
; %bb.2086:
	s_mov_b32 s6, 0x3c7fffff
	v_cmp_lt_u32_e32 vcc, s6, v4
                                        ; implicit-def: $vgpr3
	s_and_saveexec_b64 s[6:7], vcc
	s_xor_b64 s[6:7], exec, s[6:7]
; %bb.2087:
	v_bfe_u32 v3, v2, 20, 1
	s_mov_b32 s8, 0x407ffff
	v_add3_u32 v3, v2, v3, s8
	v_lshrrev_b32_e32 v4, 20, v3
	v_and_b32_e32 v3, 0xff00000, v3
	s_mov_b32 s8, 0x7f00000
	v_mov_b32_e32 v5, 0x7e
	v_cmp_ne_u32_e32 vcc, s8, v3
	s_nop 1
	v_cndmask_b32_e32 v3, v5, v4, vcc
; %bb.2088:
	s_andn2_saveexec_b64 s[6:7], s[6:7]
; %bb.2089:
	s_mov_b32 s8, 0x46800000
	v_add_f32_e64 v3, |v2|, s8
; %bb.2090:
	s_or_b64 exec, exec, s[6:7]
                                        ; implicit-def: $vgpr4
.LBB8_2091:
	s_andn2_saveexec_b64 s[4:5], s[4:5]
; %bb.2092:
	s_mov_b32 s6, 0x7f800000
	v_mov_b32_e32 v3, 0x7e
	v_mov_b32_e32 v5, 0x7f
	v_cmp_lt_u32_e32 vcc, s6, v4
	s_nop 1
	v_cndmask_b32_e32 v3, v3, v5, vcc
; %bb.2093:
	s_or_b64 exec, exec, s[4:5]
	v_lshrrev_b32_e32 v2, 24, v2
	s_movk_i32 s4, 0x80
	v_and_or_b32 v2, v2, s4, v3
	global_store_byte v[0:1], v2, off
.LBB8_2094:
	s_mov_b64 s[4:5], 0
.LBB8_2095:
	s_andn2_b64 vcc, exec, s[4:5]
	s_cbranch_vccnz .LBB8_2105
; %bb.2096:
	v_cvt_f32_f64_e32 v2, v[12:13]
	v_and_b32_e32 v4, 0x7fffffff, v2
	s_mov_b32 s4, 0x47800000
	v_cmp_gt_u32_e32 vcc, s4, v4
                                        ; implicit-def: $vgpr3
	s_and_saveexec_b64 s[4:5], vcc
	s_xor_b64 s[4:5], exec, s[4:5]
	s_cbranch_execz .LBB8_2102
; %bb.2097:
	s_mov_b32 s6, 0x387fffff
	v_cmp_lt_u32_e32 vcc, s6, v4
                                        ; implicit-def: $vgpr3
	s_and_saveexec_b64 s[6:7], vcc
	s_xor_b64 s[6:7], exec, s[6:7]
; %bb.2098:
	v_bfe_u32 v3, v2, 21, 1
	s_mov_b32 s8, 0x80fffff
	v_add3_u32 v3, v2, v3, s8
	v_lshrrev_b32_e32 v3, 21, v3
; %bb.2099:
	s_andn2_saveexec_b64 s[6:7], s[6:7]
; %bb.2100:
	s_mov_b32 s8, 0x43000000
	v_add_f32_e64 v3, |v2|, s8
; %bb.2101:
	s_or_b64 exec, exec, s[6:7]
                                        ; implicit-def: $vgpr4
.LBB8_2102:
	s_andn2_saveexec_b64 s[4:5], s[4:5]
; %bb.2103:
	s_mov_b32 s6, 0x7f800000
	v_mov_b32_e32 v3, 0x7c
	v_mov_b32_e32 v5, 0x7f
	v_cmp_lt_u32_e32 vcc, s6, v4
	s_nop 1
	v_cndmask_b32_e32 v3, v3, v5, vcc
; %bb.2104:
	s_or_b64 exec, exec, s[4:5]
	v_lshrrev_b32_e32 v2, 24, v2
	s_movk_i32 s4, 0x80
	v_and_or_b32 v2, v2, s4, v3
	global_store_byte v[0:1], v2, off
.LBB8_2105:
	s_mov_b64 s[4:5], 0
.LBB8_2106:
	s_andn2_b64 vcc, exec, s[4:5]
	s_mov_b64 s[4:5], 0
	s_cbranch_vccnz .LBB8_2113
; %bb.2107:
	s_cmp_gt_i32 s16, 14
	s_mov_b64 s[6:7], -1
	s_cbranch_scc0 .LBB8_2111
; %bb.2108:
	s_cmp_eq_u32 s16, 15
	s_mov_b64 s[0:1], -1
	s_cbranch_scc0 .LBB8_2110
; %bb.2109:
	v_cvt_f32_f64_e32 v2, v[12:13]
	v_bfe_u32 v3, v2, 16, 1
	s_movk_i32 s0, 0x7fff
	v_add3_u32 v3, v2, v3, s0
	v_cmp_o_f32_e32 vcc, v2, v2
	v_mov_b32_e32 v2, 0x7fc0
	s_mov_b64 s[0:1], 0
	v_cndmask_b32_sdwa v2, v2, v3, vcc dst_sel:DWORD dst_unused:UNUSED_PAD src0_sel:DWORD src1_sel:WORD_1
	global_store_short v[0:1], v2, off
.LBB8_2110:
	s_mov_b64 s[6:7], 0
.LBB8_2111:
	s_and_b64 vcc, exec, s[6:7]
	s_cbranch_vccz .LBB8_2113
; %bb.2112:
	s_cmp_lg_u32 s16, 11
	s_mov_b64 s[4:5], -1
	s_cselect_b64 s[0:1], -1, 0
.LBB8_2113:
	s_and_b64 vcc, exec, s[0:1]
	s_cbranch_vccnz .LBB8_2135
.LBB8_2114:
	s_mov_b64 s[0:1], 0
	s_branch .LBB8_1716
.LBB8_2115:
	s_mov_b64 s[0:1], 0
                                        ; implicit-def: $sgpr20
                                        ; implicit-def: $vgpr0_vgpr1
	s_branch .LBB8_1715
.LBB8_2116:
	s_mov_b64 s[4:5], 0
	s_mov_b64 s[0:1], -1
	s_branch .LBB8_1716
.LBB8_2117:
	s_trap 2
	s_or_b64 s[14:15], s[14:15], exec
	s_cbranch_execz .LBB8_1572
	s_branch .LBB8_1573
.LBB8_2118:
	s_andn2_saveexec_b64 s[18:19], s[18:19]
	s_cbranch_execz .LBB8_1664
.LBB8_2119:
	s_mov_b32 s21, 0x46000000
	v_add_f32_e64 v3, |v2|, s21
	v_and_b32_e32 v3, 0xff, v3
	v_cmp_ne_u32_e32 vcc, 0, v3
	s_andn2_b64 s[16:17], s[16:17], exec
	s_and_b64 s[22:23], vcc, exec
	s_or_b64 s[16:17], s[16:17], s[22:23]
	s_or_b64 exec, exec, s[18:19]
	v_mov_b32_e32 v7, 0
	s_and_saveexec_b64 s[18:19], s[16:17]
	s_cbranch_execnz .LBB8_1665
	s_branch .LBB8_1666
.LBB8_2120:
	s_trap 2
	s_or_b64 s[14:15], s[14:15], exec
	s_cbranch_execz .LBB8_1712
	s_branch .LBB8_1713
.LBB8_2121:
	s_andn2_saveexec_b64 s[16:17], s[16:17]
	s_cbranch_execz .LBB8_1677
.LBB8_2122:
	s_mov_b32 s18, 0x42800000
	v_add_f32_e64 v3, |v2|, s18
	v_and_b32_e32 v3, 0xff, v3
	v_cmp_ne_u32_e32 vcc, 0, v3
	s_andn2_b64 s[10:11], s[10:11], exec
	s_and_b64 s[18:19], vcc, exec
	s_or_b64 s[10:11], s[10:11], s[18:19]
	s_or_b64 exec, exec, s[16:17]
	v_mov_b32_e32 v7, 0
	s_and_saveexec_b64 s[16:17], s[10:11]
	s_cbranch_execnz .LBB8_1678
	s_branch .LBB8_1679
.LBB8_2123:
	s_andn2_saveexec_b64 s[16:17], s[16:17]
	s_cbranch_execz .LBB8_1829
.LBB8_2124:
	s_mov_b32 s21, 0x46000000
	v_add_f32_e64 v6, |v1|, s21
	v_and_b32_e32 v6, 0xff, v6
	v_cmp_ne_u32_e32 vcc, 0, v6
	s_andn2_b64 s[10:11], s[10:11], exec
	s_and_b64 s[22:23], vcc, exec
	s_or_b64 s[10:11], s[10:11], s[22:23]
	s_or_b64 exec, exec, s[16:17]
	v_mov_b32_e32 v7, 0
	s_and_saveexec_b64 s[16:17], s[10:11]
	s_cbranch_execnz .LBB8_1830
	s_branch .LBB8_1831
.LBB8_2125:
	s_trap 2
	s_or_b64 s[14:15], s[14:15], exec
	s_cbranch_execz .LBB8_1877
	s_branch .LBB8_1878
.LBB8_2126:
	s_andn2_saveexec_b64 s[10:11], s[10:11]
	s_cbranch_execz .LBB8_1842
.LBB8_2127:
	s_mov_b32 s16, 0x42800000
	v_add_f32_e64 v6, |v1|, s16
	v_and_b32_e32 v6, 0xff, v6
	v_cmp_ne_u32_e32 vcc, 0, v6
	s_andn2_b64 s[8:9], s[8:9], exec
	s_and_b64 s[16:17], vcc, exec
	s_or_b64 s[8:9], s[8:9], s[16:17]
	s_or_b64 exec, exec, s[10:11]
	v_mov_b32_e32 v7, 0
	s_and_saveexec_b64 s[10:11], s[8:9]
	s_cbranch_execnz .LBB8_1843
	s_branch .LBB8_1844
.LBB8_2128:
	s_andn2_saveexec_b64 s[16:17], s[16:17]
	s_cbranch_execz .LBB8_1948
.LBB8_2129:
	s_mov_b32 s21, 0x46000000
	v_add_f32_e64 v4, |v1|, s21
	v_and_b32_e32 v4, 0xff, v4
	v_cmp_ne_u32_e32 vcc, 0, v4
	s_andn2_b64 s[10:11], s[10:11], exec
	s_and_b64 s[22:23], vcc, exec
	s_or_b64 s[10:11], s[10:11], s[22:23]
	s_or_b64 exec, exec, s[16:17]
	v_mov_b32_e32 v5, 0
	s_and_saveexec_b64 s[16:17], s[10:11]
	s_cbranch_execnz .LBB8_1949
	s_branch .LBB8_1950
.LBB8_2130:
	s_trap 2
	s_or_b64 s[14:15], s[14:15], exec
	s_cbranch_execz .LBB8_1996
	s_branch .LBB8_1997
.LBB8_2131:
	s_andn2_saveexec_b64 s[10:11], s[10:11]
	s_cbranch_execz .LBB8_1961
.LBB8_2132:
	s_mov_b32 s16, 0x42800000
	v_add_f32_e64 v4, |v1|, s16
	v_and_b32_e32 v4, 0xff, v4
	v_cmp_ne_u32_e32 vcc, 0, v4
	s_andn2_b64 s[8:9], s[8:9], exec
	s_and_b64 s[16:17], vcc, exec
	s_or_b64 s[8:9], s[8:9], s[16:17]
	s_or_b64 exec, exec, s[10:11]
	v_mov_b32_e32 v5, 0
	s_and_saveexec_b64 s[10:11], s[8:9]
	s_cbranch_execnz .LBB8_1962
	s_branch .LBB8_1963
.LBB8_2133:
	s_andn2_saveexec_b64 s[10:11], s[10:11]
	s_cbranch_execz .LBB8_2068
.LBB8_2134:
	s_mov_b32 s17, 0x46000000
	v_add_f32_e64 v3, |v2|, s17
	v_and_b32_e32 v3, 0xff, v3
	v_cmp_ne_u32_e32 vcc, 0, v3
	s_andn2_b64 s[8:9], s[8:9], exec
	s_and_b64 s[18:19], vcc, exec
	s_or_b64 s[8:9], s[8:9], s[18:19]
	s_or_b64 exec, exec, s[10:11]
	v_mov_b32_e32 v4, 0
	s_and_saveexec_b64 s[10:11], s[8:9]
	s_cbranch_execnz .LBB8_2069
	s_branch .LBB8_2070
.LBB8_2135:
	s_mov_b64 s[4:5], 0
	s_or_b64 s[14:15], s[14:15], exec
	s_trap 2
	s_branch .LBB8_2114
.LBB8_2136:
	s_andn2_saveexec_b64 s[8:9], s[8:9]
	s_cbranch_execz .LBB8_2080
.LBB8_2137:
	s_mov_b32 s10, 0x42800000
	v_add_f32_e64 v3, |v2|, s10
	v_and_b32_e32 v3, 0xff, v3
	v_cmp_ne_u32_e32 vcc, 0, v3
	s_andn2_b64 s[6:7], s[6:7], exec
	s_and_b64 s[10:11], vcc, exec
	s_or_b64 s[6:7], s[6:7], s[10:11]
	s_or_b64 exec, exec, s[8:9]
	v_mov_b32_e32 v4, 0
	s_and_saveexec_b64 s[8:9], s[6:7]
	s_cbranch_execnz .LBB8_2081
	s_branch .LBB8_2082
	.section	.rodata,"a",@progbits
	.p2align	6, 0x0
	.amdhsa_kernel _ZN2at6native32elementwise_kernel_manual_unrollILi128ELi4EZNS0_15gpu_kernel_implIZZZNS0_12_GLOBAL__N_130modified_bessel_i1_kernel_cudaERNS_18TensorIteratorBaseEENKUlvE_clEvENKUlvE_clEvEUldE_EEvS5_RKT_EUlibE_EEviT1_
		.amdhsa_group_segment_fixed_size 0
		.amdhsa_private_segment_fixed_size 0
		.amdhsa_kernarg_size 40
		.amdhsa_user_sgpr_count 2
		.amdhsa_user_sgpr_dispatch_ptr 0
		.amdhsa_user_sgpr_queue_ptr 0
		.amdhsa_user_sgpr_kernarg_segment_ptr 1
		.amdhsa_user_sgpr_dispatch_id 0
		.amdhsa_user_sgpr_kernarg_preload_length 0
		.amdhsa_user_sgpr_kernarg_preload_offset 0
		.amdhsa_user_sgpr_private_segment_size 0
		.amdhsa_uses_dynamic_stack 0
		.amdhsa_enable_private_segment 0
		.amdhsa_system_sgpr_workgroup_id_x 1
		.amdhsa_system_sgpr_workgroup_id_y 0
		.amdhsa_system_sgpr_workgroup_id_z 0
		.amdhsa_system_sgpr_workgroup_info 0
		.amdhsa_system_vgpr_workitem_id 0
		.amdhsa_next_free_vgpr 22
		.amdhsa_next_free_sgpr 44
		.amdhsa_accum_offset 24
		.amdhsa_reserve_vcc 1
		.amdhsa_float_round_mode_32 0
		.amdhsa_float_round_mode_16_64 0
		.amdhsa_float_denorm_mode_32 3
		.amdhsa_float_denorm_mode_16_64 3
		.amdhsa_dx10_clamp 1
		.amdhsa_ieee_mode 1
		.amdhsa_fp16_overflow 0
		.amdhsa_tg_split 0
		.amdhsa_exception_fp_ieee_invalid_op 0
		.amdhsa_exception_fp_denorm_src 0
		.amdhsa_exception_fp_ieee_div_zero 0
		.amdhsa_exception_fp_ieee_overflow 0
		.amdhsa_exception_fp_ieee_underflow 0
		.amdhsa_exception_fp_ieee_inexact 0
		.amdhsa_exception_int_div_zero 0
	.end_amdhsa_kernel
	.section	.text._ZN2at6native32elementwise_kernel_manual_unrollILi128ELi4EZNS0_15gpu_kernel_implIZZZNS0_12_GLOBAL__N_130modified_bessel_i1_kernel_cudaERNS_18TensorIteratorBaseEENKUlvE_clEvENKUlvE_clEvEUldE_EEvS5_RKT_EUlibE_EEviT1_,"axG",@progbits,_ZN2at6native32elementwise_kernel_manual_unrollILi128ELi4EZNS0_15gpu_kernel_implIZZZNS0_12_GLOBAL__N_130modified_bessel_i1_kernel_cudaERNS_18TensorIteratorBaseEENKUlvE_clEvENKUlvE_clEvEUldE_EEvS5_RKT_EUlibE_EEviT1_,comdat
.Lfunc_end8:
	.size	_ZN2at6native32elementwise_kernel_manual_unrollILi128ELi4EZNS0_15gpu_kernel_implIZZZNS0_12_GLOBAL__N_130modified_bessel_i1_kernel_cudaERNS_18TensorIteratorBaseEENKUlvE_clEvENKUlvE_clEvEUldE_EEvS5_RKT_EUlibE_EEviT1_, .Lfunc_end8-_ZN2at6native32elementwise_kernel_manual_unrollILi128ELi4EZNS0_15gpu_kernel_implIZZZNS0_12_GLOBAL__N_130modified_bessel_i1_kernel_cudaERNS_18TensorIteratorBaseEENKUlvE_clEvENKUlvE_clEvEUldE_EEvS5_RKT_EUlibE_EEviT1_
                                        ; -- End function
	.set _ZN2at6native32elementwise_kernel_manual_unrollILi128ELi4EZNS0_15gpu_kernel_implIZZZNS0_12_GLOBAL__N_130modified_bessel_i1_kernel_cudaERNS_18TensorIteratorBaseEENKUlvE_clEvENKUlvE_clEvEUldE_EEvS5_RKT_EUlibE_EEviT1_.num_vgpr, 22
	.set _ZN2at6native32elementwise_kernel_manual_unrollILi128ELi4EZNS0_15gpu_kernel_implIZZZNS0_12_GLOBAL__N_130modified_bessel_i1_kernel_cudaERNS_18TensorIteratorBaseEENKUlvE_clEvENKUlvE_clEvEUldE_EEvS5_RKT_EUlibE_EEviT1_.num_agpr, 0
	.set _ZN2at6native32elementwise_kernel_manual_unrollILi128ELi4EZNS0_15gpu_kernel_implIZZZNS0_12_GLOBAL__N_130modified_bessel_i1_kernel_cudaERNS_18TensorIteratorBaseEENKUlvE_clEvENKUlvE_clEvEUldE_EEvS5_RKT_EUlibE_EEviT1_.numbered_sgpr, 44
	.set _ZN2at6native32elementwise_kernel_manual_unrollILi128ELi4EZNS0_15gpu_kernel_implIZZZNS0_12_GLOBAL__N_130modified_bessel_i1_kernel_cudaERNS_18TensorIteratorBaseEENKUlvE_clEvENKUlvE_clEvEUldE_EEvS5_RKT_EUlibE_EEviT1_.num_named_barrier, 0
	.set _ZN2at6native32elementwise_kernel_manual_unrollILi128ELi4EZNS0_15gpu_kernel_implIZZZNS0_12_GLOBAL__N_130modified_bessel_i1_kernel_cudaERNS_18TensorIteratorBaseEENKUlvE_clEvENKUlvE_clEvEUldE_EEvS5_RKT_EUlibE_EEviT1_.private_seg_size, 0
	.set _ZN2at6native32elementwise_kernel_manual_unrollILi128ELi4EZNS0_15gpu_kernel_implIZZZNS0_12_GLOBAL__N_130modified_bessel_i1_kernel_cudaERNS_18TensorIteratorBaseEENKUlvE_clEvENKUlvE_clEvEUldE_EEvS5_RKT_EUlibE_EEviT1_.uses_vcc, 1
	.set _ZN2at6native32elementwise_kernel_manual_unrollILi128ELi4EZNS0_15gpu_kernel_implIZZZNS0_12_GLOBAL__N_130modified_bessel_i1_kernel_cudaERNS_18TensorIteratorBaseEENKUlvE_clEvENKUlvE_clEvEUldE_EEvS5_RKT_EUlibE_EEviT1_.uses_flat_scratch, 0
	.set _ZN2at6native32elementwise_kernel_manual_unrollILi128ELi4EZNS0_15gpu_kernel_implIZZZNS0_12_GLOBAL__N_130modified_bessel_i1_kernel_cudaERNS_18TensorIteratorBaseEENKUlvE_clEvENKUlvE_clEvEUldE_EEvS5_RKT_EUlibE_EEviT1_.has_dyn_sized_stack, 0
	.set _ZN2at6native32elementwise_kernel_manual_unrollILi128ELi4EZNS0_15gpu_kernel_implIZZZNS0_12_GLOBAL__N_130modified_bessel_i1_kernel_cudaERNS_18TensorIteratorBaseEENKUlvE_clEvENKUlvE_clEvEUldE_EEvS5_RKT_EUlibE_EEviT1_.has_recursion, 0
	.set _ZN2at6native32elementwise_kernel_manual_unrollILi128ELi4EZNS0_15gpu_kernel_implIZZZNS0_12_GLOBAL__N_130modified_bessel_i1_kernel_cudaERNS_18TensorIteratorBaseEENKUlvE_clEvENKUlvE_clEvEUldE_EEvS5_RKT_EUlibE_EEviT1_.has_indirect_call, 0
	.section	.AMDGPU.csdata,"",@progbits
; Kernel info:
; codeLenInByte = 60956
; TotalNumSgprs: 50
; NumVgprs: 22
; NumAgprs: 0
; TotalNumVgprs: 22
; ScratchSize: 0
; MemoryBound: 1
; FloatMode: 240
; IeeeMode: 1
; LDSByteSize: 0 bytes/workgroup (compile time only)
; SGPRBlocks: 6
; VGPRBlocks: 2
; NumSGPRsForWavesPerEU: 50
; NumVGPRsForWavesPerEU: 22
; AccumOffset: 24
; Occupancy: 8
; WaveLimiterHint : 0
; COMPUTE_PGM_RSRC2:SCRATCH_EN: 0
; COMPUTE_PGM_RSRC2:USER_SGPR: 2
; COMPUTE_PGM_RSRC2:TRAP_HANDLER: 0
; COMPUTE_PGM_RSRC2:TGID_X_EN: 1
; COMPUTE_PGM_RSRC2:TGID_Y_EN: 0
; COMPUTE_PGM_RSRC2:TGID_Z_EN: 0
; COMPUTE_PGM_RSRC2:TIDIG_COMP_CNT: 0
; COMPUTE_PGM_RSRC3_GFX90A:ACCUM_OFFSET: 5
; COMPUTE_PGM_RSRC3_GFX90A:TG_SPLIT: 0
	.section	.text._ZN2at6native32elementwise_kernel_manual_unrollILi128ELi4EZNS0_15gpu_kernel_implIZZZNS0_12_GLOBAL__N_130modified_bessel_i1_kernel_cudaERNS_18TensorIteratorBaseEENKUlvE_clEvENKUlvE_clEvEUldE_EEvS5_RKT_EUlibE0_EEviT1_,"axG",@progbits,_ZN2at6native32elementwise_kernel_manual_unrollILi128ELi4EZNS0_15gpu_kernel_implIZZZNS0_12_GLOBAL__N_130modified_bessel_i1_kernel_cudaERNS_18TensorIteratorBaseEENKUlvE_clEvENKUlvE_clEvEUldE_EEvS5_RKT_EUlibE0_EEviT1_,comdat
	.globl	_ZN2at6native32elementwise_kernel_manual_unrollILi128ELi4EZNS0_15gpu_kernel_implIZZZNS0_12_GLOBAL__N_130modified_bessel_i1_kernel_cudaERNS_18TensorIteratorBaseEENKUlvE_clEvENKUlvE_clEvEUldE_EEvS5_RKT_EUlibE0_EEviT1_ ; -- Begin function _ZN2at6native32elementwise_kernel_manual_unrollILi128ELi4EZNS0_15gpu_kernel_implIZZZNS0_12_GLOBAL__N_130modified_bessel_i1_kernel_cudaERNS_18TensorIteratorBaseEENKUlvE_clEvENKUlvE_clEvEUldE_EEvS5_RKT_EUlibE0_EEviT1_
	.p2align	8
	.type	_ZN2at6native32elementwise_kernel_manual_unrollILi128ELi4EZNS0_15gpu_kernel_implIZZZNS0_12_GLOBAL__N_130modified_bessel_i1_kernel_cudaERNS_18TensorIteratorBaseEENKUlvE_clEvENKUlvE_clEvEUldE_EEvS5_RKT_EUlibE0_EEviT1_,@function
_ZN2at6native32elementwise_kernel_manual_unrollILi128ELi4EZNS0_15gpu_kernel_implIZZZNS0_12_GLOBAL__N_130modified_bessel_i1_kernel_cudaERNS_18TensorIteratorBaseEENKUlvE_clEvENKUlvE_clEvEUldE_EEvS5_RKT_EUlibE0_EEviT1_: ; @_ZN2at6native32elementwise_kernel_manual_unrollILi128ELi4EZNS0_15gpu_kernel_implIZZZNS0_12_GLOBAL__N_130modified_bessel_i1_kernel_cudaERNS_18TensorIteratorBaseEENKUlvE_clEvENKUlvE_clEvEUldE_EEvS5_RKT_EUlibE0_EEviT1_
; %bb.0:
	s_load_dword s70, s[0:1], 0x0
	s_load_dword s33, s[0:1], 0x8
	s_add_u32 s34, s0, 8
	s_addc_u32 s35, s1, 0
	v_lshl_or_b32 v10, s2, 9, v0
	v_or_b32_e32 v16, 0x180, v10
	s_waitcnt lgkmcnt(0)
	s_add_i32 s72, s33, -1
	s_cmp_gt_u32 s72, 1
	v_cmp_le_i32_e32 vcc, s70, v16
	s_cselect_b64 s[42:43], -1, 0
	s_mov_b64 s[40:41], 0
	s_mov_b64 s[24:25], 0
	s_and_saveexec_b64 s[2:3], vcc
	s_xor_b64 s[44:45], exec, s[2:3]
	s_cbranch_execz .LBB9_1138
; %bb.1:
	v_mov_b32_e32 v0, 0
	global_load_ushort v0, v0, s[34:35] offset:345
	s_load_dwordx4 s[28:31], s[34:35], 0x4
	s_load_dwordx2 s[46:47], s[34:35], 0x14
	s_load_dwordx4 s[24:27], s[34:35], 0xc4
	s_load_dwordx4 s[20:23], s[34:35], 0x148
	s_cmp_lg_u32 s33, 0
	s_cselect_b64 s[52:53], -1, 0
	s_add_u32 s50, s34, 0xc4
	s_addc_u32 s51, s35, 0
	s_min_u32 s75, s72, 15
	s_cmp_gt_u32 s33, 1
	s_cselect_b64 s[48:49], -1, 0
	v_cmp_gt_i32_e32 vcc, s70, v10
	s_mov_b64 s[4:5], -1
	s_mov_b64 s[62:63], 0
	s_mov_b64 s[56:57], 0
	;; [unrolled: 1-line block ×3, first 2 shown]
	s_waitcnt vmcnt(0)
	v_readfirstlane_b32 s73, v0
	s_and_b32 s2, 0xffff, s73
	s_lshr_b32 s74, s2, 8
	s_and_saveexec_b64 s[58:59], vcc
	s_cbranch_execz .LBB9_279
; %bb.2:
	s_andn2_b64 vcc, exec, s[42:43]
	s_cbranch_vccnz .LBB9_8
; %bb.3:
	s_andn2_b64 vcc, exec, s[52:53]
	s_cbranch_vccnz .LBB9_9
; %bb.4:
	s_add_i32 s57, s75, 1
	s_cmp_eq_u32 s72, 2
	s_cbranch_scc1 .LBB9_10
; %bb.5:
	s_and_b32 s56, s57, 28
	s_mov_b32 s60, 0
	v_mov_b32_e32 v2, 0
	v_mov_b32_e32 v0, 0
	s_mov_b64 s[2:3], s[34:35]
	s_mov_b64 s[54:55], s[50:51]
	v_mov_b32_e32 v4, v10
.LBB9_6:                                ; =>This Inner Loop Header: Depth=1
	s_load_dwordx8 s[12:19], s[2:3], 0x4
	s_load_dwordx4 s[36:39], s[2:3], 0x24
	s_load_dwordx8 s[4:11], s[54:55], 0x0
	s_add_u32 s2, s2, 48
	s_addc_u32 s3, s3, 0
	s_waitcnt lgkmcnt(0)
	v_mul_hi_u32 v1, s13, v4
	v_add_u32_e32 v1, v4, v1
	v_lshrrev_b32_e32 v1, s14, v1
	v_mul_lo_u32 v3, v1, s12
	v_mul_hi_u32 v5, s16, v1
	v_sub_u32_e32 v3, v4, v3
	v_add_u32_e32 v4, v1, v5
	v_lshrrev_b32_e32 v4, s17, v4
	v_mul_lo_u32 v6, v4, s15
	v_mul_hi_u32 v7, s19, v4
	v_sub_u32_e32 v1, v1, v6
	v_add_u32_e32 v6, v4, v7
	v_mul_lo_u32 v5, v3, s5
	v_mul_lo_u32 v3, v3, s4
	;; [unrolled: 1-line block ×4, first 2 shown]
	v_lshrrev_b32_e32 v6, s36, v6
	v_add3_u32 v1, v3, v2, v1
	v_mul_hi_u32 v3, s38, v6
	v_mul_lo_u32 v2, v6, s18
	v_add_u32_e32 v3, v6, v3
	v_sub_u32_e32 v2, v4, v2
	v_lshrrev_b32_e32 v4, s39, v3
	s_add_i32 s60, s60, 4
	v_mul_lo_u32 v3, v4, s37
	s_add_u32 s54, s54, 32
	v_sub_u32_e32 v3, v6, v3
	s_addc_u32 s55, s55, 0
	v_add3_u32 v0, v5, v0, v7
	v_mul_lo_u32 v5, v2, s8
	v_mul_lo_u32 v2, v2, s9
	;; [unrolled: 1-line block ×4, first 2 shown]
	s_cmp_lg_u32 s56, s60
	v_add3_u32 v0, v2, v0, v3
	v_add3_u32 v2, v5, v1, v6
	s_cbranch_scc1 .LBB9_6
; %bb.7:
	v_mov_b32_e32 v1, v0
	s_branch .LBB9_11
.LBB9_8:
                                        ; implicit-def: $vgpr0
                                        ; implicit-def: $vgpr2
	s_branch .LBB9_15
.LBB9_9:
	v_mov_b32_e32 v0, 0
	v_mov_b32_e32 v2, 0
	s_branch .LBB9_14
.LBB9_10:
	v_mov_b32_e32 v2, 0
	s_mov_b32 s56, 0
	v_mov_b32_e32 v1, v2
                                        ; implicit-def: $vgpr0
	v_mov_b32_e32 v4, v10
.LBB9_11:
	s_and_b32 s6, s57, 3
	s_cmp_eq_u32 s6, 0
	s_cbranch_scc1 .LBB9_14
; %bb.12:
	s_lshl_b32 s2, s56, 3
	s_add_u32 s2, s34, s2
	s_addc_u32 s3, s35, 0
	s_add_u32 s2, s2, 0xc4
	s_addc_u32 s3, s3, 0
	s_mul_i32 s4, s56, 12
	s_add_u32 s4, s34, s4
	s_addc_u32 s5, s35, 0
.LBB9_13:                               ; =>This Inner Loop Header: Depth=1
	s_load_dwordx2 s[8:9], s[4:5], 0x4
	s_load_dword s7, s[4:5], 0xc
	s_load_dwordx2 s[10:11], s[2:3], 0x0
	v_mov_b32_e32 v0, v1
	s_add_u32 s4, s4, 12
	s_waitcnt lgkmcnt(0)
	v_mul_hi_u32 v1, s9, v4
	v_add_u32_e32 v1, v4, v1
	v_lshrrev_b32_e32 v1, s7, v1
	s_addc_u32 s5, s5, 0
	v_mul_lo_u32 v3, v1, s8
	s_add_u32 s2, s2, 8
	v_sub_u32_e32 v3, v4, v3
	s_addc_u32 s3, s3, 0
	s_add_i32 s6, s6, -1
	v_mov_b32_e32 v4, v1
	v_mad_u64_u32 v[0:1], s[8:9], v3, s11, v[0:1]
	s_cmp_lg_u32 s6, 0
	v_mad_u64_u32 v[2:3], s[8:9], v3, s10, v[2:3]
	v_mov_b32_e32 v1, v0
	s_cbranch_scc1 .LBB9_13
.LBB9_14:
	s_cbranch_execnz .LBB9_17
.LBB9_15:
	s_waitcnt lgkmcnt(0)
	v_mul_hi_u32 v0, s29, v10
	v_add_u32_e32 v0, v10, v0
	v_lshrrev_b32_e32 v1, s30, v0
	v_mul_lo_u32 v0, v1, s28
	v_sub_u32_e32 v2, v10, v0
	v_mul_lo_u32 v0, v2, s25
	s_andn2_b64 vcc, exec, s[48:49]
	v_mul_lo_u32 v2, v2, s24
	s_cbranch_vccnz .LBB9_17
; %bb.16:
	v_mul_hi_u32 v3, s46, v1
	v_add_u32_e32 v3, v1, v3
	v_lshrrev_b32_e32 v3, s47, v3
	v_mul_lo_u32 v3, v3, s31
	v_sub_u32_e32 v1, v1, v3
	v_mad_u64_u32 v[2:3], s[2:3], v1, s26, v[2:3]
	v_mad_u64_u32 v[0:1], s[2:3], v1, s27, v[0:1]
.LBB9_17:
	v_mov_b32_e32 v1, 0
	s_and_b32 s10, 0xffff, s74
	s_cmp_lt_i32 s10, 11
	s_waitcnt lgkmcnt(0)
	v_lshl_add_u64 v[0:1], s[22:23], 0, v[0:1]
	s_cbranch_scc1 .LBB9_24
; %bb.18:
	s_cmp_gt_i32 s10, 25
	s_cbranch_scc0 .LBB9_45
; %bb.19:
	s_cmp_gt_i32 s10, 28
	s_cbranch_scc0 .LBB9_48
	;; [unrolled: 3-line block ×4, first 2 shown]
; %bb.22:
	s_cmp_eq_u32 s10, 46
	s_mov_b64 s[6:7], 0
	s_cbranch_scc0 .LBB9_54
; %bb.23:
	global_load_dword v3, v[0:1], off
	s_mov_b64 s[2:3], -1
	s_mov_b64 s[4:5], 0
	s_waitcnt vmcnt(0)
	v_lshlrev_b32_e32 v3, 16, v3
	v_cvt_f64_f32_e32 v[4:5], v3
	s_branch .LBB9_56
.LBB9_24:
	s_mov_b64 s[4:5], 0
                                        ; implicit-def: $vgpr4_vgpr5
	s_mov_b64 s[2:3], 0
	s_cbranch_execnz .LBB9_229
.LBB9_25:
	s_andn2_b64 vcc, exec, s[2:3]
	s_cbranch_vccnz .LBB9_276
.LBB9_26:
	s_mov_b32 s2, 0
	s_mov_b32 s3, 0x40200000
	s_waitcnt vmcnt(0)
	v_cmp_le_f64_e64 s[2:3], |v[4:5]|, s[2:3]
                                        ; implicit-def: $vgpr0_vgpr1
	s_and_saveexec_b64 s[6:7], s[2:3]
	s_xor_b64 s[2:3], exec, s[6:7]
	s_cbranch_execz .LBB9_32
; %bb.27:
	s_mov_b32 s6, 0xc3c4014
	v_fma_f64 v[0:1], |v[4:5]|, 0.5, -2.0
	v_mov_b32_e32 v6, 0xc38a0576
	v_mov_b32_e32 v7, 0xbc7857d0
	s_mov_b32 s7, 0x3c499f2a
	v_fmac_f64_e32 v[6:7], s[6:7], v[0:1]
	v_mov_b32_e32 v8, 0xc3c4014
	v_mov_b32_e32 v9, 0xbc499f2a
	s_mov_b32 s6, 0xe593bfac
	v_fmac_f64_e32 v[8:9], v[0:1], v[6:7]
	s_mov_b32 s7, 0x3ca663e3
	v_add_f64 v[8:9], v[8:9], s[6:7]
	s_mov_b32 s6, 0x7e0d1573
	v_fma_f64 v[6:7], v[0:1], v[8:9], -v[6:7]
	s_mov_b32 s7, 0xbcd3eaaa
	v_add_f64 v[6:7], v[6:7], s[6:7]
	s_mov_b32 s6, 0x615290c
	v_fma_f64 v[8:9], v[0:1], v[6:7], -v[8:9]
	s_mov_b32 s7, 0x3d011d7f
	v_add_f64 v[8:9], v[8:9], s[6:7]
	s_mov_b32 s6, 0x1c8f0b3b
	v_fma_f64 v[6:7], v[0:1], v[8:9], -v[6:7]
	s_mov_b32 s7, 0xbd2c628e
	v_add_f64 v[6:7], v[6:7], s[6:7]
	s_mov_b32 s6, 0x4779d955
	v_fma_f64 v[8:9], v[0:1], v[6:7], -v[8:9]
	s_mov_b32 s7, 0x3d56af78
	v_add_f64 v[8:9], v[8:9], s[6:7]
	s_mov_b32 s6, 0x5fb70366
	v_fma_f64 v[6:7], v[0:1], v[8:9], -v[6:7]
	s_mov_b32 s7, 0xbd817383
	v_add_f64 v[6:7], v[6:7], s[6:7]
	s_mov_b32 s6, 0xb21d3154
	v_fma_f64 v[8:9], v[0:1], v[6:7], -v[8:9]
	s_mov_b32 s7, 0x3da9cee2
	v_add_f64 v[8:9], v[8:9], s[6:7]
	s_mov_b32 s6, 0x97eb07de
	v_fma_f64 v[6:7], v[0:1], v[8:9], -v[6:7]
	s_mov_b32 s7, 0xbdd25103
	v_add_f64 v[6:7], v[6:7], s[6:7]
	s_mov_b32 s6, 0xb43fdf6c
	v_fma_f64 v[8:9], v[0:1], v[6:7], -v[8:9]
	s_mov_b32 s7, 0x3df8ea34
	v_add_f64 v[8:9], v[8:9], s[6:7]
	s_mov_b32 s6, 0x28ea67e6
	v_fma_f64 v[6:7], v[0:1], v[8:9], -v[6:7]
	s_mov_b32 s7, 0xbe20361b
	v_add_f64 v[6:7], v[6:7], s[6:7]
	s_mov_b32 s6, 0x2395010
	v_fma_f64 v[8:9], v[0:1], v[6:7], -v[8:9]
	s_mov_b32 s7, 0x3e44258e
	v_add_f64 v[8:9], v[8:9], s[6:7]
	s_mov_b32 s6, 0x24b8c3e8
	v_fma_f64 v[6:7], v[0:1], v[8:9], -v[6:7]
	s_mov_b32 s7, 0xbe67dd3e
	v_add_f64 v[6:7], v[6:7], s[6:7]
	s_mov_b32 s6, 0xb347d108
	v_fma_f64 v[8:9], v[0:1], v[6:7], -v[8:9]
	s_mov_b32 s7, 0x3e8ae344
	v_add_f64 v[8:9], v[8:9], s[6:7]
	s_mov_b32 s6, 0x8363992a
	v_fma_f64 v[6:7], v[0:1], v[8:9], -v[6:7]
	s_mov_b32 s7, 0xbeacc079
	v_add_f64 v[6:7], v[6:7], s[6:7]
	s_mov_b32 s6, 0xd511afc5
	v_fma_f64 v[8:9], v[0:1], v[6:7], -v[8:9]
	s_mov_b32 s7, 0x3ecd1c4e
	v_add_f64 v[8:9], v[8:9], s[6:7]
	s_mov_b32 s6, 0xb8debbcf
	v_fma_f64 v[6:7], v[0:1], v[8:9], -v[6:7]
	s_mov_b32 s7, 0xbeebd5f9
	v_add_f64 v[6:7], v[6:7], s[6:7]
	s_mov_b32 s6, 0x42c70d0b
	v_fma_f64 v[8:9], v[0:1], v[6:7], -v[8:9]
	s_mov_b32 s7, 0x3f0911b5
	v_add_f64 v[8:9], v[8:9], s[6:7]
	s_mov_b32 s6, 0xd3d694fe
	v_fma_f64 v[6:7], v[0:1], v[8:9], -v[6:7]
	s_mov_b32 s7, 0xbf2533ca
	v_add_f64 v[6:7], v[6:7], s[6:7]
	s_mov_b32 s6, 0xb6c6df7d
	v_fma_f64 v[8:9], v[0:1], v[6:7], -v[8:9]
	s_mov_b32 s7, 0x3f40c95d
	v_add_f64 v[8:9], v[8:9], s[6:7]
	s_mov_b32 s6, 0xb3cd4a4
	v_fma_f64 v[6:7], v[0:1], v[8:9], -v[6:7]
	s_mov_b32 s7, 0xbf58cc62
	v_add_f64 v[6:7], v[6:7], s[6:7]
	s_mov_b32 s6, 0x49d3a1b4
	v_fma_f64 v[8:9], v[0:1], v[6:7], -v[8:9]
	s_mov_b32 s7, 0x3f710653
	v_add_f64 v[8:9], v[8:9], s[6:7]
	s_mov_b32 s6, 0x7913a26a
	v_fma_f64 v[6:7], v[0:1], v[8:9], -v[6:7]
	s_mov_b32 s7, 0xbf85a29f
	v_add_f64 v[6:7], v[6:7], s[6:7]
	s_mov_b32 s6, 0xe7bb2349
	v_fma_f64 v[8:9], v[0:1], v[6:7], -v[8:9]
	s_mov_b32 s7, 0x3f9951e3
	v_add_f64 v[8:9], v[8:9], s[6:7]
	s_mov_b32 s6, 0x537c9ebc
	v_fma_f64 v[6:7], v[0:1], v[8:9], -v[6:7]
	s_mov_b32 s7, 0xbfab1bbc
	v_add_f64 v[6:7], v[6:7], s[6:7]
	s_mov_b32 s6, 0xd536f53c
	v_fma_f64 v[8:9], v[0:1], v[6:7], -v[8:9]
	s_mov_b32 s7, 0x3fba46da
	v_add_f64 v[8:9], v[8:9], s[6:7]
	s_mov_b32 s6, 0x469192e
	v_fma_f64 v[6:7], v[0:1], v[8:9], -v[6:7]
	s_mov_b32 s7, 0xbfc694d1
	v_add_f64 v[6:7], v[6:7], s[6:7]
	s_mov_b32 s6, 0x724a7ffa
	v_fma_f64 v[0:1], v[0:1], v[6:7], -v[8:9]
	s_mov_b32 s7, 0x3fd02a63
	v_add_f64 v[0:1], v[0:1], s[6:7]
	v_add_f64 v[0:1], v[0:1], -v[8:9]
	s_mov_b32 s6, 0x652b82fe
	v_mul_f64 v[0:1], v[0:1], 0.5
	s_mov_b32 s7, 0x3ff71547
	v_mul_f64 v[6:7], |v[4:5]|, v[0:1]
	v_mul_f64 v[0:1], |v[4:5]|, s[6:7]
	s_mov_b32 s6, 0xfefa39ef
	v_rndne_f64_e32 v[0:1], v[0:1]
	s_mov_b32 s7, 0xbfe62e42
	v_fma_f64 v[8:9], v[0:1], s[6:7], |v[4:5]|
	s_mov_b32 s6, 0x3b39803f
	s_mov_b32 s7, 0xbc7abc9e
	v_fmac_f64_e32 v[8:9], s[6:7], v[0:1]
	s_mov_b32 s6, 0x6a5dcb37
	v_mov_b32_e32 v12, 0xfca7ab0c
	v_mov_b32_e32 v13, 0x3e928af3
	s_mov_b32 s7, 0x3e5ade15
	v_fmac_f64_e32 v[12:13], s[6:7], v[8:9]
	v_mov_b32_e32 v14, 0x623fde64
	v_mov_b32_e32 v15, 0x3ec71dee
	v_fmac_f64_e32 v[14:15], v[8:9], v[12:13]
	v_mov_b32_e32 v12, 0x7c89e6b0
	v_mov_b32_e32 v13, 0x3efa0199
	;; [unrolled: 3-line block ×8, first 2 shown]
	v_fmac_f64_e32 v[12:13], v[8:9], v[14:15]
	v_fma_f64 v[12:13], v[8:9], v[12:13], 1.0
	v_cmp_ngt_f64_e32 vcc, 0, v[4:5]
	v_fma_f64 v[8:9], v[8:9], v[12:13], 1.0
	v_cvt_i32_f64_e32 v3, v[0:1]
                                        ; implicit-def: $vgpr0_vgpr1
	s_and_saveexec_b64 s[6:7], vcc
	s_xor_b64 s[6:7], exec, s[6:7]
; %bb.28:
	s_mov_b32 s8, 0
	s_mov_b32 s9, 0x40900000
	v_ldexp_f64 v[0:1], v[8:9], v3
	v_mov_b32_e32 v3, 0x7ff00000
	v_cmp_ngt_f64_e64 vcc, |v[4:5]|, s[8:9]
                                        ; implicit-def: $vgpr8_vgpr9
                                        ; implicit-def: $vgpr4_vgpr5
	s_nop 1
	v_cndmask_b32_e32 v1, v3, v1, vcc
	v_cndmask_b32_e32 v0, 0, v0, vcc
	v_mul_f64 v[0:1], v[0:1], v[6:7]
                                        ; implicit-def: $vgpr3
                                        ; implicit-def: $vgpr6_vgpr7
; %bb.29:
	s_andn2_saveexec_b64 s[6:7], s[6:7]
; %bb.30:
	s_mov_b32 s8, 0
	s_mov_b32 s9, 0x40900000
	v_ldexp_f64 v[0:1], -v[8:9], v3
	v_mov_b32_e32 v3, 0xfff00000
	v_cmp_ngt_f64_e64 vcc, |v[4:5]|, s[8:9]
	s_nop 1
	v_cndmask_b32_e32 v1, v3, v1, vcc
	v_cndmask_b32_e32 v0, 0, v0, vcc
	v_mul_f64 v[0:1], v[0:1], v[6:7]
; %bb.31:
	s_or_b64 exec, exec, s[6:7]
                                        ; implicit-def: $vgpr4_vgpr5
.LBB9_32:
	s_andn2_saveexec_b64 s[6:7], s[2:3]
	s_cbranch_execz .LBB9_38
; %bb.33:
	s_mov_b32 s2, 0
	v_and_b32_e32 v1, 0x7fffffff, v5
	v_mov_b32_e32 v0, v4
	s_mov_b32 s3, 0x40400000
	v_div_scale_f64 v[6:7], s[8:9], v[0:1], v[0:1], s[2:3]
	v_rcp_f64_e32 v[8:9], v[6:7]
	v_div_scale_f64 v[0:1], vcc, s[2:3], v[0:1], s[2:3]
	v_mov_b32_e32 v14, 0xfca7ab0c
	v_fma_f64 v[12:13], -v[6:7], v[8:9], 1.0
	v_fmac_f64_e32 v[8:9], v[8:9], v[12:13]
	v_fma_f64 v[12:13], -v[6:7], v[8:9], 1.0
	v_fmac_f64_e32 v[8:9], v[8:9], v[12:13]
	v_mul_f64 v[12:13], v[0:1], v[8:9]
	v_fma_f64 v[0:1], -v[6:7], v[12:13], v[0:1]
	v_div_fmas_f64 v[0:1], v[0:1], v[8:9], v[12:13]
	v_div_fixup_f64 v[0:1], v[0:1], |v[4:5]|, s[2:3]
	s_mov_b32 s2, 0xb352e8e6
	v_add_f64 v[0:1], v[0:1], -2.0
	v_mov_b32_e32 v6, 0xea87b950
	v_mov_b32_e32 v7, 0x3c545b8a
	s_mov_b32 s3, 0x3c61556d
	v_fmac_f64_e32 v[6:7], s[2:3], v[0:1]
	v_mov_b32_e32 v8, 0xb352e8e6
	v_mov_b32_e32 v9, 0xbc61556d
	s_mov_b32 s2, 0xb2532277
	v_fmac_f64_e32 v[8:9], v[0:1], v[6:7]
	s_mov_b32 s3, 0xbc8acea3
	v_add_f64 v[8:9], v[8:9], s[2:3]
	s_mov_b32 s2, 0x9c773320
	v_fma_f64 v[6:7], v[0:1], v[8:9], -v[6:7]
	s_mov_b32 s3, 0xbc82806c
	v_add_f64 v[6:7], v[6:7], s[2:3]
	s_mov_b32 s2, 0xfceb588a
	v_fma_f64 v[8:9], v[0:1], v[6:7], -v[8:9]
	;; [unrolled: 4-line block ×22, first 2 shown]
	s_mov_b32 s3, 0x3fe8ea18
	v_add_f64 v[0:1], v[0:1], s[2:3]
	s_mov_b32 s2, 0x652b82fe
	s_mov_b32 s3, 0x3ff71547
	v_mul_f64 v[6:7], |v[4:5]|, s[2:3]
	s_mov_b32 s2, 0xfefa39ef
	v_rndne_f64_e32 v[6:7], v[6:7]
	s_mov_b32 s3, 0xbfe62e42
	v_fma_f64 v[12:13], v[6:7], s[2:3], |v[4:5]|
	s_mov_b32 s2, 0x3b39803f
	s_mov_b32 s3, 0xbc7abc9e
	v_fmac_f64_e32 v[12:13], s[2:3], v[6:7]
	s_mov_b32 s2, 0x6a5dcb37
	v_mov_b32_e32 v15, 0x3e928af3
	s_mov_b32 s3, 0x3e5ade15
	v_fmac_f64_e32 v[14:15], s[2:3], v[12:13]
	v_mov_b32_e32 v16, 0x623fde64
	v_mov_b32_e32 v17, 0x3ec71dee
	v_fmac_f64_e32 v[16:17], v[12:13], v[14:15]
	v_mov_b32_e32 v14, 0x7c89e6b0
	v_mov_b32_e32 v15, 0x3efa0199
	;; [unrolled: 3-line block ×8, first 2 shown]
	v_fmac_f64_e32 v[14:15], v[12:13], v[16:17]
	v_fma_f64 v[14:15], v[12:13], v[14:15], 1.0
	s_mov_b32 s2, 0
	v_fma_f64 v[12:13], v[12:13], v[14:15], 1.0
	v_cvt_i32_f64_e32 v3, v[6:7]
	s_mov_b32 s3, 0x40900000
	v_ldexp_f64 v[6:7], v[12:13], v3
	v_mov_b32_e32 v3, 0x7ff00000
	v_cmp_ngt_f64_e64 s[2:3], |v[4:5]|, s[2:3]
	v_cmp_ngt_f64_e32 vcc, 0, v[4:5]
	v_add_f64 v[8:9], v[0:1], -v[8:9]
	v_cndmask_b32_e64 v7, v3, v7, s[2:3]
	v_cndmask_b32_e64 v6, 0, v6, s[2:3]
                                        ; implicit-def: $vgpr0_vgpr1
	s_and_saveexec_b64 s[2:3], vcc
	s_xor_b64 s[2:3], exec, s[2:3]
	s_cbranch_execz .LBB9_35
; %bb.34:
	s_mov_b32 s8, 0
	s_brev_b32 s9, 8
	v_mov_b32_e32 v0, 0x100
	v_cmp_lt_f64_e64 vcc, |v[4:5]|, s[8:9]
	v_mul_f64 v[8:9], v[8:9], 0.5
	v_mul_f64 v[6:7], v[6:7], v[8:9]
	v_cndmask_b32_e32 v0, 0, v0, vcc
	v_ldexp_f64 v[0:1], |v[4:5]|, v0
	v_rsq_f64_e32 v[4:5], v[0:1]
	v_mov_b32_e32 v3, 0xffffff80
	v_cndmask_b32_e32 v3, 0, v3, vcc
	v_mul_f64 v[8:9], v[0:1], v[4:5]
	v_mul_f64 v[4:5], v[4:5], 0.5
	v_fma_f64 v[12:13], -v[4:5], v[8:9], 0.5
	v_fmac_f64_e32 v[8:9], v[8:9], v[12:13]
	v_fma_f64 v[14:15], -v[8:9], v[8:9], v[0:1]
	v_fmac_f64_e32 v[4:5], v[4:5], v[12:13]
	v_fmac_f64_e32 v[8:9], v[14:15], v[4:5]
	v_fma_f64 v[12:13], -v[8:9], v[8:9], v[0:1]
	v_fmac_f64_e32 v[8:9], v[12:13], v[4:5]
	v_ldexp_f64 v[4:5], v[8:9], v3
	v_mov_b32_e32 v3, 0x260
	v_cmp_class_f64_e32 vcc, v[0:1], v3
	s_nop 1
	v_cndmask_b32_e32 v1, v5, v1, vcc
	v_cndmask_b32_e32 v0, v4, v0, vcc
	v_div_scale_f64 v[4:5], s[8:9], v[0:1], v[0:1], v[6:7]
	v_rcp_f64_e32 v[8:9], v[4:5]
	s_nop 0
	v_fma_f64 v[12:13], -v[4:5], v[8:9], 1.0
	v_fmac_f64_e32 v[8:9], v[8:9], v[12:13]
	v_fma_f64 v[12:13], -v[4:5], v[8:9], 1.0
	v_fmac_f64_e32 v[8:9], v[8:9], v[12:13]
	v_div_scale_f64 v[12:13], vcc, v[6:7], v[0:1], v[6:7]
	v_mul_f64 v[14:15], v[12:13], v[8:9]
	v_fma_f64 v[4:5], -v[4:5], v[14:15], v[12:13]
	s_nop 1
	v_div_fmas_f64 v[4:5], v[4:5], v[8:9], v[14:15]
	v_div_fixup_f64 v[0:1], v[4:5], v[0:1], v[6:7]
                                        ; implicit-def: $vgpr4_vgpr5
                                        ; implicit-def: $vgpr8_vgpr9
                                        ; implicit-def: $vgpr6_vgpr7
.LBB9_35:
	s_andn2_saveexec_b64 s[2:3], s[2:3]
	s_cbranch_execz .LBB9_37
; %bb.36:
	s_mov_b32 s8, 0
	s_brev_b32 s9, 8
	v_mov_b32_e32 v0, 0x100
	v_cmp_lt_f64_e64 vcc, |v[4:5]|, s[8:9]
	v_mov_b32_e32 v3, 0xffffff80
	s_nop 0
	v_cndmask_b32_e32 v0, 0, v0, vcc
	v_ldexp_f64 v[0:1], |v[4:5]|, v0
	v_rsq_f64_e32 v[4:5], v[0:1]
	v_cndmask_b32_e32 v3, 0, v3, vcc
	v_mul_f64 v[12:13], v[0:1], v[4:5]
	v_mul_f64 v[4:5], v[4:5], 0.5
	v_fma_f64 v[14:15], -v[4:5], v[12:13], 0.5
	v_fmac_f64_e32 v[12:13], v[12:13], v[14:15]
	v_fma_f64 v[16:17], -v[12:13], v[12:13], v[0:1]
	v_fmac_f64_e32 v[4:5], v[4:5], v[14:15]
	v_fmac_f64_e32 v[12:13], v[16:17], v[4:5]
	v_fma_f64 v[14:15], -v[12:13], v[12:13], v[0:1]
	v_fmac_f64_e32 v[12:13], v[14:15], v[4:5]
	v_ldexp_f64 v[4:5], v[12:13], v3
	v_mov_b32_e32 v3, 0x260
	v_cmp_class_f64_e32 vcc, v[0:1], v3
	s_nop 1
	v_cndmask_b32_e32 v1, v5, v1, vcc
	v_cndmask_b32_e32 v0, v4, v0, vcc
	v_mul_f64 v[4:5], v[8:9], -0.5
	v_mul_f64 v[4:5], v[6:7], v[4:5]
	v_div_scale_f64 v[6:7], s[8:9], v[0:1], v[0:1], v[4:5]
	v_rcp_f64_e32 v[8:9], v[6:7]
	s_nop 0
	v_fma_f64 v[12:13], -v[6:7], v[8:9], 1.0
	v_fmac_f64_e32 v[8:9], v[8:9], v[12:13]
	v_fma_f64 v[12:13], -v[6:7], v[8:9], 1.0
	v_fmac_f64_e32 v[8:9], v[8:9], v[12:13]
	v_div_scale_f64 v[12:13], vcc, v[4:5], v[0:1], v[4:5]
	v_mul_f64 v[14:15], v[12:13], v[8:9]
	v_fma_f64 v[6:7], -v[6:7], v[14:15], v[12:13]
	s_nop 1
	v_div_fmas_f64 v[6:7], v[6:7], v[8:9], v[14:15]
	v_div_fixup_f64 v[0:1], v[6:7], v[0:1], v[4:5]
.LBB9_37:
	s_or_b64 exec, exec, s[2:3]
.LBB9_38:
	s_or_b64 exec, exec, s[6:7]
	v_mov_b32_e32 v3, 0
	s_and_b32 s12, s73, 0xff
	s_cmp_lt_i32 s12, 11
	v_lshl_add_u64 v[4:5], s[20:21], 0, v[2:3]
	s_cbranch_scc1 .LBB9_46
; %bb.39:
	s_and_b32 s13, 0xffff, s12
	s_cmp_gt_i32 s13, 25
	s_cbranch_scc0 .LBB9_49
; %bb.40:
	s_cmp_gt_i32 s13, 28
	s_cbranch_scc0 .LBB9_51
; %bb.41:
	;; [unrolled: 3-line block ×4, first 2 shown]
	s_mov_b64 s[8:9], 0
	s_mov_b64 s[2:3], -1
	s_cmp_eq_u32 s13, 46
	s_mov_b64 s[6:7], 0
	s_cbranch_scc0 .LBB9_60
; %bb.44:
	v_cvt_f32_f64_e32 v2, v[0:1]
	v_bfe_u32 v3, v2, 16, 1
	s_movk_i32 s2, 0x7fff
	v_add3_u32 v3, v2, v3, s2
	v_cmp_o_f32_e32 vcc, v2, v2
	v_mov_b32_e32 v2, 0x7fc0
	s_mov_b64 s[6:7], -1
	v_cndmask_b32_sdwa v2, v2, v3, vcc dst_sel:DWORD dst_unused:UNUSED_PAD src0_sel:DWORD src1_sel:WORD_1
	global_store_dword v[4:5], v2, off
	s_mov_b64 s[2:3], 0
	s_branch .LBB9_60
.LBB9_45:
	s_mov_b64 s[4:5], 0
	s_mov_b64 s[2:3], 0
                                        ; implicit-def: $vgpr4_vgpr5
	s_cbranch_execnz .LBB9_196
	s_branch .LBB9_228
.LBB9_46:
	s_mov_b64 s[2:3], 0
	s_mov_b64 s[6:7], 0
	s_cbranch_execnz .LBB9_129
.LBB9_47:
	s_andn2_b64 vcc, exec, s[6:7]
	s_cbranch_vccnz .LBB9_277
	s_branch .LBB9_167
.LBB9_48:
	s_mov_b64 s[6:7], -1
	s_mov_b64 s[4:5], 0
	s_mov_b64 s[2:3], 0
                                        ; implicit-def: $vgpr4_vgpr5
	s_branch .LBB9_175
.LBB9_49:
	s_mov_b64 s[8:9], -1
	s_mov_b64 s[2:3], 0
	s_mov_b64 s[6:7], 0
	s_branch .LBB9_87
.LBB9_50:
	s_mov_b64 s[6:7], -1
	s_mov_b64 s[4:5], 0
	s_mov_b64 s[2:3], 0
                                        ; implicit-def: $vgpr4_vgpr5
	s_branch .LBB9_170
.LBB9_51:
	s_mov_b64 s[8:9], -1
	s_mov_b64 s[2:3], 0
	s_mov_b64 s[6:7], 0
	s_branch .LBB9_70
.LBB9_52:
	s_mov_b64 s[6:7], -1
	s_mov_b64 s[4:5], 0
	s_branch .LBB9_55
.LBB9_53:
	s_mov_b64 s[8:9], -1
	s_mov_b64 s[2:3], 0
	s_mov_b64 s[6:7], 0
	s_branch .LBB9_66
.LBB9_54:
	s_mov_b64 s[4:5], -1
.LBB9_55:
	s_mov_b64 s[2:3], 0
                                        ; implicit-def: $vgpr4_vgpr5
.LBB9_56:
	s_and_b64 vcc, exec, s[6:7]
	s_cbranch_vccz .LBB9_169
; %bb.57:
	s_cmp_eq_u32 s10, 44
	s_cbranch_scc0 .LBB9_168
; %bb.58:
	global_load_ubyte v3, v[0:1], off
	s_movk_i32 s4, 0xff
	v_bfrev_b32_e32 v6, 4
	v_mov_b32_e32 v7, 0x7ff80000
	v_bfrev_b32_e32 v8, 28
	s_mov_b64 s[2:3], -1
	s_waitcnt vmcnt(0)
	v_lshlrev_b32_e32 v4, 23, v3
	v_cvt_f64_f32_e32 v[4:5], v4
	v_cmp_ne_u32_e32 vcc, s4, v3
	s_mov_b64 s[4:5], 0
	s_nop 0
	v_cndmask_b32_e32 v4, v6, v4, vcc
	v_cndmask_b32_e32 v5, v7, v5, vcc
	v_cmp_ne_u32_e32 vcc, 0, v3
	s_nop 1
	v_cndmask_b32_e32 v5, v8, v5, vcc
	v_cndmask_b32_e32 v4, 0, v4, vcc
	s_branch .LBB9_169
.LBB9_59:
	s_mov_b64 s[8:9], -1
	s_mov_b64 s[2:3], 0
	s_mov_b64 s[6:7], 0
.LBB9_60:
	s_and_b64 vcc, exec, s[8:9]
	s_cbranch_vccz .LBB9_65
; %bb.61:
	s_cmp_eq_u32 s13, 44
	s_mov_b64 s[2:3], -1
	s_cbranch_scc0 .LBB9_65
; %bb.62:
	v_cvt_f32_f64_e32 v2, v[0:1]
	v_bfe_u32 v3, v2, 23, 8
	s_movk_i32 s2, 0xff
	v_cmp_ne_u32_e32 vcc, s2, v3
	v_mov_b32_e32 v6, 0xff
	s_and_saveexec_b64 s[6:7], vcc
; %bb.63:
	s_mov_b32 s2, 0x3fffff
	v_lshrrev_b32_e32 v6, 23, v2
	v_and_b32_e32 v7, 0x400000, v2
	v_and_or_b32 v2, v2, s2, v3
	v_cmp_ne_u32_e32 vcc, 0, v7
	v_cmp_ne_u32_e64 s[2:3], 0, v2
	s_and_b64 s[2:3], vcc, s[2:3]
	s_nop 0
	v_cndmask_b32_e64 v2, 0, 1, s[2:3]
	v_add_u32_e32 v6, v6, v2
; %bb.64:
	s_or_b64 exec, exec, s[6:7]
	s_mov_b64 s[6:7], -1
	s_mov_b64 s[2:3], 0
	global_store_byte v[4:5], v6, off
.LBB9_65:
	s_mov_b64 s[8:9], 0
.LBB9_66:
	s_and_b64 vcc, exec, s[8:9]
	s_cbranch_vccz .LBB9_69
; %bb.67:
	s_cmp_eq_u32 s13, 29
	s_mov_b64 s[2:3], -1
	s_cbranch_scc0 .LBB9_69
; %bb.68:
	v_trunc_f64_e32 v[2:3], v[0:1]
	s_movk_i32 s2, 0xffe0
	v_ldexp_f64 v[6:7], v[2:3], s2
	v_floor_f64_e32 v[6:7], v[6:7]
	v_fmac_f64_e32 v[2:3], 0xc1f00000, v[6:7]
	v_cvt_u32_f64_e32 v9, v[6:7]
	v_cvt_u32_f64_e32 v8, v[2:3]
	global_store_dwordx2 v[4:5], v[8:9], off
	s_mov_b64 s[6:7], -1
	s_mov_b64 s[2:3], 0
.LBB9_69:
	s_mov_b64 s[8:9], 0
.LBB9_70:
	s_and_b64 vcc, exec, s[8:9]
	s_cbranch_vccz .LBB9_86
; %bb.71:
	s_cmp_lt_i32 s13, 27
	s_mov_b64 s[6:7], -1
	s_cbranch_scc1 .LBB9_77
; %bb.72:
	s_cmp_gt_i32 s13, 27
	v_cvt_u32_f64_e32 v2, v[0:1]
	s_cbranch_scc0 .LBB9_74
; %bb.73:
	s_mov_b64 s[6:7], 0
	global_store_dword v[4:5], v2, off
.LBB9_74:
	s_andn2_b64 vcc, exec, s[6:7]
	s_cbranch_vccnz .LBB9_76
; %bb.75:
	global_store_short v[4:5], v2, off
.LBB9_76:
	s_mov_b64 s[6:7], 0
.LBB9_77:
	s_andn2_b64 vcc, exec, s[6:7]
	s_cbranch_vccnz .LBB9_85
; %bb.78:
	v_cvt_f32_f64_e32 v2, v[0:1]
	v_and_b32_e32 v3, 0x7fffffff, v2
	s_mov_b32 s6, 0x43800000
	v_cmp_gt_u32_e32 vcc, s6, v3
	v_mov_b32_e32 v6, 0x80
	s_and_saveexec_b64 s[6:7], vcc
	s_cbranch_execz .LBB9_84
; %bb.79:
	s_mov_b32 s8, 0x3bffffff
	v_cmp_lt_u32_e32 vcc, s8, v3
	s_mov_b64 s[8:9], 0
                                        ; implicit-def: $vgpr3
	s_and_saveexec_b64 s[10:11], vcc
	s_xor_b64 s[10:11], exec, s[10:11]
	s_cbranch_execz .LBB9_333
; %bb.80:
	v_bfe_u32 v3, v2, 20, 1
	s_mov_b32 s14, 0x487ffff
	v_add3_u32 v3, v2, v3, s14
	s_mov_b64 s[8:9], exec
	v_lshrrev_b32_e32 v3, 20, v3
	s_andn2_saveexec_b64 s[10:11], s[10:11]
	s_cbranch_execnz .LBB9_334
.LBB9_81:
	s_or_b64 exec, exec, s[10:11]
	v_mov_b32_e32 v6, 0
	s_and_saveexec_b64 s[10:11], s[8:9]
.LBB9_82:
	v_lshrrev_b32_e32 v2, 24, v2
	s_movk_i32 s8, 0x80
	v_and_or_b32 v6, v2, s8, v3
.LBB9_83:
	s_or_b64 exec, exec, s[10:11]
.LBB9_84:
	s_or_b64 exec, exec, s[6:7]
	global_store_byte v[4:5], v6, off
.LBB9_85:
	s_mov_b64 s[6:7], -1
.LBB9_86:
	s_mov_b64 s[8:9], 0
.LBB9_87:
	s_and_b64 vcc, exec, s[8:9]
	s_cbranch_vccz .LBB9_128
; %bb.88:
	s_cmp_gt_i32 s13, 22
	s_mov_b64 s[8:9], -1
	s_cbranch_scc0 .LBB9_120
; %bb.89:
	s_cmp_lt_i32 s13, 24
	s_mov_b64 s[6:7], -1
	s_cbranch_scc1 .LBB9_109
; %bb.90:
	s_cmp_gt_i32 s13, 24
	s_cbranch_scc0 .LBB9_98
; %bb.91:
	v_cvt_f32_f64_e32 v2, v[0:1]
	v_and_b32_e32 v3, 0x7fffffff, v2
	s_mov_b32 s6, 0x47800000
	v_cmp_gt_u32_e32 vcc, s6, v3
	v_mov_b32_e32 v6, 0x80
	s_and_saveexec_b64 s[6:7], vcc
	s_cbranch_execz .LBB9_97
; %bb.92:
	s_mov_b32 s8, 0x37ffffff
	v_cmp_lt_u32_e32 vcc, s8, v3
	s_mov_b64 s[8:9], 0
                                        ; implicit-def: $vgpr3
	s_and_saveexec_b64 s[10:11], vcc
	s_xor_b64 s[10:11], exec, s[10:11]
	s_cbranch_execz .LBB9_337
; %bb.93:
	v_bfe_u32 v3, v2, 21, 1
	s_mov_b32 s14, 0x88fffff
	v_add3_u32 v3, v2, v3, s14
	s_mov_b64 s[8:9], exec
	v_lshrrev_b32_e32 v3, 21, v3
	s_andn2_saveexec_b64 s[10:11], s[10:11]
	s_cbranch_execnz .LBB9_338
.LBB9_94:
	s_or_b64 exec, exec, s[10:11]
	v_mov_b32_e32 v6, 0
	s_and_saveexec_b64 s[10:11], s[8:9]
.LBB9_95:
	v_lshrrev_b32_e32 v2, 24, v2
	s_movk_i32 s8, 0x80
	v_and_or_b32 v6, v2, s8, v3
.LBB9_96:
	s_or_b64 exec, exec, s[10:11]
.LBB9_97:
	s_or_b64 exec, exec, s[6:7]
	s_mov_b64 s[6:7], 0
	global_store_byte v[4:5], v6, off
.LBB9_98:
	s_and_b64 vcc, exec, s[6:7]
	s_cbranch_vccz .LBB9_108
; %bb.99:
	v_cvt_f32_f64_e32 v2, v[0:1]
	v_and_b32_e32 v6, 0x7fffffff, v2
	s_mov_b32 s6, 0x43f00000
	v_cmp_gt_u32_e32 vcc, s6, v6
                                        ; implicit-def: $vgpr3
	s_and_saveexec_b64 s[6:7], vcc
	s_xor_b64 s[6:7], exec, s[6:7]
	s_cbranch_execz .LBB9_105
; %bb.100:
	s_mov_b32 s8, 0x3c7fffff
	v_cmp_lt_u32_e32 vcc, s8, v6
                                        ; implicit-def: $vgpr3
	s_and_saveexec_b64 s[8:9], vcc
	s_xor_b64 s[8:9], exec, s[8:9]
; %bb.101:
	v_bfe_u32 v3, v2, 20, 1
	s_mov_b32 s10, 0x407ffff
	v_add3_u32 v3, v2, v3, s10
	v_lshrrev_b32_e32 v6, 20, v3
	v_and_b32_e32 v3, 0xff00000, v3
	s_mov_b32 s10, 0x7f00000
	v_mov_b32_e32 v7, 0x7e
	v_cmp_ne_u32_e32 vcc, s10, v3
	s_nop 1
	v_cndmask_b32_e32 v3, v7, v6, vcc
; %bb.102:
	s_andn2_saveexec_b64 s[8:9], s[8:9]
; %bb.103:
	s_mov_b32 s10, 0x46800000
	v_add_f32_e64 v3, |v2|, s10
; %bb.104:
	s_or_b64 exec, exec, s[8:9]
                                        ; implicit-def: $vgpr6
.LBB9_105:
	s_andn2_saveexec_b64 s[6:7], s[6:7]
; %bb.106:
	s_mov_b32 s8, 0x7f800000
	v_mov_b32_e32 v3, 0x7e
	v_mov_b32_e32 v7, 0x7f
	v_cmp_lt_u32_e32 vcc, s8, v6
	s_nop 1
	v_cndmask_b32_e32 v3, v3, v7, vcc
; %bb.107:
	s_or_b64 exec, exec, s[6:7]
	v_lshrrev_b32_e32 v2, 24, v2
	s_movk_i32 s6, 0x80
	v_and_or_b32 v2, v2, s6, v3
	global_store_byte v[4:5], v2, off
.LBB9_108:
	s_mov_b64 s[6:7], 0
.LBB9_109:
	s_andn2_b64 vcc, exec, s[6:7]
	s_cbranch_vccnz .LBB9_119
; %bb.110:
	v_cvt_f32_f64_e32 v2, v[0:1]
	v_and_b32_e32 v6, 0x7fffffff, v2
	s_mov_b32 s6, 0x47800000
	v_cmp_gt_u32_e32 vcc, s6, v6
                                        ; implicit-def: $vgpr3
	s_and_saveexec_b64 s[6:7], vcc
	s_xor_b64 s[6:7], exec, s[6:7]
	s_cbranch_execz .LBB9_116
; %bb.111:
	s_mov_b32 s8, 0x387fffff
	v_cmp_lt_u32_e32 vcc, s8, v6
                                        ; implicit-def: $vgpr3
	s_and_saveexec_b64 s[8:9], vcc
	s_xor_b64 s[8:9], exec, s[8:9]
; %bb.112:
	v_bfe_u32 v3, v2, 21, 1
	s_mov_b32 s10, 0x80fffff
	v_add3_u32 v3, v2, v3, s10
	v_lshrrev_b32_e32 v3, 21, v3
; %bb.113:
	s_andn2_saveexec_b64 s[8:9], s[8:9]
; %bb.114:
	s_mov_b32 s10, 0x43000000
	v_add_f32_e64 v3, |v2|, s10
; %bb.115:
	s_or_b64 exec, exec, s[8:9]
                                        ; implicit-def: $vgpr6
.LBB9_116:
	s_andn2_saveexec_b64 s[6:7], s[6:7]
; %bb.117:
	s_mov_b32 s8, 0x7f800000
	v_mov_b32_e32 v3, 0x7c
	v_mov_b32_e32 v7, 0x7f
	v_cmp_lt_u32_e32 vcc, s8, v6
	s_nop 1
	v_cndmask_b32_e32 v3, v3, v7, vcc
; %bb.118:
	s_or_b64 exec, exec, s[6:7]
	v_lshrrev_b32_e32 v2, 24, v2
	s_movk_i32 s6, 0x80
	v_and_or_b32 v2, v2, s6, v3
	global_store_byte v[4:5], v2, off
.LBB9_119:
	s_mov_b64 s[8:9], 0
	s_mov_b64 s[6:7], -1
.LBB9_120:
	s_andn2_b64 vcc, exec, s[8:9]
	s_cbranch_vccnz .LBB9_128
; %bb.121:
	s_cmp_gt_i32 s13, 14
	s_mov_b64 s[8:9], -1
	s_cbranch_scc0 .LBB9_125
; %bb.122:
	s_cmp_eq_u32 s13, 15
	s_mov_b64 s[2:3], -1
	s_cbranch_scc0 .LBB9_124
; %bb.123:
	v_cvt_f32_f64_e32 v2, v[0:1]
	v_bfe_u32 v3, v2, 16, 1
	s_movk_i32 s2, 0x7fff
	v_add3_u32 v3, v2, v3, s2
	v_cmp_o_f32_e32 vcc, v2, v2
	v_mov_b32_e32 v2, 0x7fc0
	s_mov_b64 s[6:7], -1
	v_cndmask_b32_sdwa v2, v2, v3, vcc dst_sel:DWORD dst_unused:UNUSED_PAD src0_sel:DWORD src1_sel:WORD_1
	global_store_short v[4:5], v2, off
	s_mov_b64 s[2:3], 0
.LBB9_124:
	s_mov_b64 s[8:9], 0
.LBB9_125:
	s_and_b64 vcc, exec, s[8:9]
	s_cbranch_vccz .LBB9_128
; %bb.126:
	s_cmp_eq_u32 s13, 11
	s_mov_b64 s[2:3], -1
	s_cbranch_scc0 .LBB9_128
; %bb.127:
	v_cmp_neq_f64_e32 vcc, 0, v[0:1]
	s_mov_b64 s[2:3], 0
	s_mov_b64 s[6:7], -1
	v_cndmask_b32_e64 v2, 0, 1, vcc
	global_store_byte v[4:5], v2, off
.LBB9_128:
	s_branch .LBB9_47
.LBB9_129:
	s_and_b32 s8, 0xffff, s12
	s_cmp_lt_i32 s8, 5
	s_mov_b64 s[6:7], -1
	s_cbranch_scc1 .LBB9_150
; %bb.130:
	s_cmp_lt_i32 s8, 8
	s_cbranch_scc1 .LBB9_140
; %bb.131:
	s_cmp_lt_i32 s8, 9
	s_cbranch_scc1 .LBB9_137
; %bb.132:
	s_cmp_gt_i32 s8, 9
	s_cbranch_scc0 .LBB9_134
; %bb.133:
	v_mov_b32_e32 v2, 0
	v_mov_b32_e32 v3, v2
	global_store_dwordx4 v[4:5], v[0:3], off
	s_mov_b64 s[6:7], 0
.LBB9_134:
	s_andn2_b64 vcc, exec, s[6:7]
	s_cbranch_vccnz .LBB9_136
; %bb.135:
	v_cvt_f32_f64_e32 v2, v[0:1]
	v_mov_b32_e32 v3, 0
	global_store_dwordx2 v[4:5], v[2:3], off
.LBB9_136:
	s_mov_b64 s[6:7], 0
.LBB9_137:
	s_andn2_b64 vcc, exec, s[6:7]
	s_cbranch_vccnz .LBB9_139
; %bb.138:
	s_movk_i32 s6, 0x1ff
	v_and_or_b32 v2, v1, s6, v0
	v_cmp_ne_u32_e32 vcc, 0, v2
	v_lshrrev_b32_e32 v3, 8, v1
	s_movk_i32 s6, 0xffe
	v_cndmask_b32_e64 v2, 0, 1, vcc
	v_bfe_u32 v6, v1, 20, 11
	v_and_or_b32 v2, v3, s6, v2
	v_sub_u32_e32 v7, 0x3f1, v6
	v_or_b32_e32 v3, 0x1000, v2
	v_med3_i32 v7, v7, 0, 13
	v_lshrrev_b32_e32 v8, v7, v3
	v_lshlrev_b32_e32 v7, v7, v8
	v_cmp_ne_u32_e32 vcc, v7, v3
	v_add_u32_e32 v6, 0xfffffc10, v6
	v_lshl_or_b32 v7, v6, 12, v2
	v_cndmask_b32_e64 v3, 0, 1, vcc
	v_or_b32_e32 v3, v8, v3
	v_cmp_gt_i32_e32 vcc, 1, v6
	s_movk_i32 s6, 0x40f
	s_nop 0
	v_cndmask_b32_e32 v3, v7, v3, vcc
	v_and_b32_e32 v7, 7, v3
	v_cmp_lt_i32_e32 vcc, 5, v7
	v_lshrrev_b32_e32 v3, 2, v3
	s_nop 0
	v_cndmask_b32_e64 v8, 0, 1, vcc
	v_cmp_eq_u32_e32 vcc, 3, v7
	s_nop 1
	v_cndmask_b32_e64 v7, 0, 1, vcc
	v_or_b32_e32 v7, v7, v8
	v_add_u32_e32 v3, v3, v7
	v_mov_b32_e32 v7, 0x7c00
	v_cmp_gt_i32_e32 vcc, 31, v6
	v_mov_b32_e32 v8, 0x7e00
	s_nop 0
	v_cndmask_b32_e32 v3, v7, v3, vcc
	v_cmp_ne_u32_e32 vcc, 0, v2
	s_nop 1
	v_cndmask_b32_e32 v2, v7, v8, vcc
	v_cmp_eq_u32_e32 vcc, s6, v6
	s_mov_b32 s6, 0x8000
	s_nop 0
	v_cndmask_b32_e32 v2, v3, v2, vcc
	v_and_b32_sdwa v3, v1, s6 dst_sel:DWORD dst_unused:UNUSED_PAD src0_sel:WORD_1 src1_sel:DWORD
	s_mov_b32 s6, 0xffff
	v_bitop3_b32 v2, v3, s6, v2 bitop3:0xc8
	global_store_dword v[4:5], v2, off
.LBB9_139:
	s_mov_b64 s[6:7], 0
.LBB9_140:
	s_andn2_b64 vcc, exec, s[6:7]
	s_cbranch_vccnz .LBB9_149
; %bb.141:
	s_cmp_lt_i32 s8, 6
	s_mov_b64 s[6:7], -1
	s_cbranch_scc1 .LBB9_147
; %bb.142:
	s_cmp_gt_i32 s8, 6
	s_cbranch_scc0 .LBB9_144
; %bb.143:
	global_store_dwordx2 v[4:5], v[0:1], off
	s_mov_b64 s[6:7], 0
.LBB9_144:
	s_andn2_b64 vcc, exec, s[6:7]
	s_cbranch_vccnz .LBB9_146
; %bb.145:
	v_cvt_f32_f64_e32 v2, v[0:1]
	global_store_dword v[4:5], v2, off
.LBB9_146:
	s_mov_b64 s[6:7], 0
.LBB9_147:
	s_andn2_b64 vcc, exec, s[6:7]
	s_cbranch_vccnz .LBB9_149
; %bb.148:
	s_movk_i32 s6, 0x1ff
	v_and_or_b32 v2, v1, s6, v0
	v_cmp_ne_u32_e32 vcc, 0, v2
	v_lshrrev_b32_e32 v3, 8, v1
	s_movk_i32 s6, 0xffe
	v_cndmask_b32_e64 v2, 0, 1, vcc
	v_bfe_u32 v6, v1, 20, 11
	v_and_or_b32 v2, v3, s6, v2
	v_sub_u32_e32 v7, 0x3f1, v6
	v_or_b32_e32 v3, 0x1000, v2
	v_med3_i32 v7, v7, 0, 13
	v_lshrrev_b32_e32 v8, v7, v3
	v_lshlrev_b32_e32 v7, v7, v8
	v_cmp_ne_u32_e32 vcc, v7, v3
	v_add_u32_e32 v6, 0xfffffc10, v6
	v_lshl_or_b32 v7, v6, 12, v2
	v_cndmask_b32_e64 v3, 0, 1, vcc
	v_or_b32_e32 v3, v8, v3
	v_cmp_gt_i32_e32 vcc, 1, v6
	s_movk_i32 s6, 0x40f
	s_nop 0
	v_cndmask_b32_e32 v3, v7, v3, vcc
	v_and_b32_e32 v7, 7, v3
	v_cmp_lt_i32_e32 vcc, 5, v7
	v_lshrrev_b32_e32 v3, 2, v3
	s_nop 0
	v_cndmask_b32_e64 v8, 0, 1, vcc
	v_cmp_eq_u32_e32 vcc, 3, v7
	s_nop 1
	v_cndmask_b32_e64 v7, 0, 1, vcc
	v_or_b32_e32 v7, v7, v8
	v_add_u32_e32 v3, v3, v7
	v_mov_b32_e32 v7, 0x7c00
	v_cmp_gt_i32_e32 vcc, 31, v6
	v_mov_b32_e32 v8, 0x7e00
	s_nop 0
	v_cndmask_b32_e32 v3, v7, v3, vcc
	v_cmp_ne_u32_e32 vcc, 0, v2
	s_nop 1
	v_cndmask_b32_e32 v2, v7, v8, vcc
	v_cmp_eq_u32_e32 vcc, s6, v6
	s_mov_b32 s6, 0x8000
	s_nop 0
	v_cndmask_b32_e32 v2, v3, v2, vcc
	v_lshrrev_b32_e32 v3, 16, v1
	v_and_or_b32 v2, v3, s6, v2
	global_store_short v[4:5], v2, off
.LBB9_149:
	s_mov_b64 s[6:7], 0
.LBB9_150:
	s_andn2_b64 vcc, exec, s[6:7]
	s_cbranch_vccnz .LBB9_166
; %bb.151:
	s_cmp_lt_i32 s8, 2
	s_mov_b64 s[6:7], -1
	s_cbranch_scc1 .LBB9_161
; %bb.152:
	s_cmp_lt_i32 s8, 3
	s_cbranch_scc1 .LBB9_158
; %bb.153:
	s_cmp_gt_i32 s8, 3
	s_cbranch_scc0 .LBB9_155
; %bb.154:
	v_trunc_f64_e32 v[2:3], v[0:1]
	s_movk_i32 s6, 0xffe0
	v_ldexp_f64 v[6:7], v[2:3], s6
	v_floor_f64_e32 v[6:7], v[6:7]
	v_fmac_f64_e32 v[2:3], 0xc1f00000, v[6:7]
	v_cvt_i32_f64_e32 v9, v[6:7]
	v_cvt_u32_f64_e32 v8, v[2:3]
	global_store_dwordx2 v[4:5], v[8:9], off
	s_mov_b64 s[6:7], 0
.LBB9_155:
	s_andn2_b64 vcc, exec, s[6:7]
	s_cbranch_vccnz .LBB9_157
; %bb.156:
	v_cvt_i32_f64_e32 v2, v[0:1]
	global_store_dword v[4:5], v2, off
.LBB9_157:
	s_mov_b64 s[6:7], 0
.LBB9_158:
	s_andn2_b64 vcc, exec, s[6:7]
	s_cbranch_vccnz .LBB9_160
; %bb.159:
	v_cvt_i32_f64_e32 v2, v[0:1]
	global_store_short v[4:5], v2, off
.LBB9_160:
	s_mov_b64 s[6:7], 0
.LBB9_161:
	s_andn2_b64 vcc, exec, s[6:7]
	s_cbranch_vccnz .LBB9_166
; %bb.162:
	s_cmp_gt_i32 s8, 0
	s_mov_b64 s[6:7], -1
	s_cbranch_scc0 .LBB9_164
; %bb.163:
	v_cvt_i32_f64_e32 v2, v[0:1]
	global_store_byte v[4:5], v2, off
	s_mov_b64 s[6:7], 0
.LBB9_164:
	s_andn2_b64 vcc, exec, s[6:7]
	s_cbranch_vccnz .LBB9_166
; %bb.165:
	v_trunc_f64_e32 v[0:1], v[0:1]
	s_movk_i32 s6, 0xffe0
	v_ldexp_f64 v[2:3], v[0:1], s6
	v_floor_f64_e32 v[2:3], v[2:3]
	v_fmac_f64_e32 v[0:1], 0xc1f00000, v[2:3]
	v_cvt_u32_f64_e32 v0, v[0:1]
	global_store_byte v[4:5], v0, off
.LBB9_166:
.LBB9_167:
	v_add_u32_e32 v10, 0x80, v10
	s_mov_b64 s[6:7], -1
	s_branch .LBB9_278
.LBB9_168:
	s_mov_b64 s[4:5], -1
                                        ; implicit-def: $vgpr4_vgpr5
.LBB9_169:
	s_mov_b64 s[6:7], 0
.LBB9_170:
	s_and_b64 vcc, exec, s[6:7]
	s_cbranch_vccz .LBB9_174
; %bb.171:
	s_cmp_eq_u32 s10, 29
	s_cbranch_scc0 .LBB9_173
; %bb.172:
	global_load_dwordx2 v[4:5], v[0:1], off
	s_mov_b64 s[2:3], -1
	s_mov_b64 s[4:5], 0
	s_mov_b64 s[6:7], 0
	s_waitcnt vmcnt(0)
	v_cvt_f64_u32_e32 v[6:7], v5
	v_cvt_f64_u32_e32 v[4:5], v4
	v_ldexp_f64 v[6:7], v[6:7], 32
	v_add_f64 v[4:5], v[6:7], v[4:5]
	s_branch .LBB9_175
.LBB9_173:
	s_mov_b64 s[4:5], -1
                                        ; implicit-def: $vgpr4_vgpr5
.LBB9_174:
	s_mov_b64 s[6:7], 0
.LBB9_175:
	s_and_b64 vcc, exec, s[6:7]
	s_cbranch_vccz .LBB9_195
; %bb.176:
	s_cmp_lt_i32 s10, 27
	s_cbranch_scc1 .LBB9_179
; %bb.177:
	s_cmp_gt_i32 s10, 27
	s_cbranch_scc0 .LBB9_180
; %bb.178:
	global_load_dword v3, v[0:1], off
	s_mov_b64 s[2:3], 0
	s_waitcnt vmcnt(0)
	v_cvt_f64_u32_e32 v[4:5], v3
	s_branch .LBB9_181
.LBB9_179:
	s_mov_b64 s[2:3], -1
                                        ; implicit-def: $vgpr4_vgpr5
	s_branch .LBB9_184
.LBB9_180:
	s_mov_b64 s[2:3], -1
                                        ; implicit-def: $vgpr4_vgpr5
.LBB9_181:
	s_andn2_b64 vcc, exec, s[2:3]
	s_cbranch_vccnz .LBB9_183
; %bb.182:
	global_load_ushort v3, v[0:1], off
	s_waitcnt vmcnt(0)
	v_cvt_f64_u32_e32 v[4:5], v3
.LBB9_183:
	s_mov_b64 s[2:3], 0
.LBB9_184:
	s_andn2_b64 vcc, exec, s[2:3]
	s_cbranch_vccnz .LBB9_194
; %bb.185:
	global_load_ubyte v3, v[0:1], off
	s_movk_i32 s2, 0x7f
	s_waitcnt vmcnt(0)
	v_cmp_lt_i16_e32 vcc, s2, v3
	s_mov_b64 s[2:3], 0
	s_and_saveexec_b64 s[6:7], vcc
	s_xor_b64 s[6:7], exec, s[6:7]
	s_cbranch_execz .LBB9_189
; %bb.186:
	s_movk_i32 s2, 0x80
	v_cmp_eq_u16_e32 vcc, s2, v3
	s_mov_b64 s[2:3], -1
	s_and_saveexec_b64 s[8:9], vcc
; %bb.187:
	s_xor_b64 s[2:3], exec, -1
; %bb.188:
	s_or_b64 exec, exec, s[8:9]
	s_and_b64 s[2:3], s[2:3], exec
.LBB9_189:
	s_or_saveexec_b64 s[6:7], s[6:7]
	v_bfrev_b32_e32 v4, 4
	v_mov_b32_e32 v5, 0x7ff80000
	s_xor_b64 exec, exec, s[6:7]
; %bb.190:
	v_cmp_ne_u16_e32 vcc, 0, v3
	s_andn2_b64 s[2:3], s[2:3], exec
	s_and_b64 s[8:9], vcc, exec
	v_mov_b64_e32 v[4:5], 0
	s_or_b64 s[2:3], s[2:3], s[8:9]
; %bb.191:
	s_or_b64 exec, exec, s[6:7]
	s_and_saveexec_b64 s[6:7], s[2:3]
	s_cbranch_execz .LBB9_193
; %bb.192:
	v_lshlrev_b32_e32 v4, 24, v3
	v_and_b32_e32 v3, 0xffff, v3
	v_and_b32_e32 v5, 7, v3
	v_ffbh_u32_e32 v7, v5
	v_min_u32_e32 v7, 32, v7
	v_subrev_u32_e32 v8, 28, v7
	v_bfe_u32 v6, v3, 3, 4
	v_lshlrev_b32_e32 v3, v8, v3
	v_sub_u32_e32 v7, 29, v7
	v_and_b32_e32 v3, 7, v3
	v_cmp_eq_u32_e32 vcc, 0, v6
	v_and_b32_e32 v4, 0x80000000, v4
	s_nop 0
	v_cndmask_b32_e32 v6, v6, v7, vcc
	v_cndmask_b32_e32 v3, v5, v3, vcc
	v_mov_b32_e32 v5, 0x3b800000
	v_lshlrev_b32_e32 v3, 20, v3
	v_lshl_add_u32 v5, v6, 23, v5
	v_or3_b32 v3, v4, v5, v3
	v_cvt_f64_f32_e32 v[4:5], v3
.LBB9_193:
	s_or_b64 exec, exec, s[6:7]
.LBB9_194:
	s_mov_b64 s[2:3], -1
.LBB9_195:
	s_branch .LBB9_228
.LBB9_196:
	s_cmp_gt_i32 s10, 22
	s_cbranch_scc0 .LBB9_208
; %bb.197:
	s_cmp_lt_i32 s10, 24
	s_cbranch_scc1 .LBB9_209
; %bb.198:
	s_cmp_gt_i32 s10, 24
	s_cbranch_scc0 .LBB9_210
; %bb.199:
	global_load_ubyte v3, v[0:1], off
	s_movk_i32 s2, 0x7f
	s_waitcnt vmcnt(0)
	v_cmp_lt_i16_e32 vcc, s2, v3
	s_mov_b64 s[2:3], 0
	s_and_saveexec_b64 s[6:7], vcc
	s_xor_b64 s[6:7], exec, s[6:7]
	s_cbranch_execz .LBB9_203
; %bb.200:
	s_movk_i32 s2, 0x80
	v_cmp_eq_u16_e32 vcc, s2, v3
	s_mov_b64 s[2:3], -1
	s_and_saveexec_b64 s[8:9], vcc
; %bb.201:
	s_xor_b64 s[2:3], exec, -1
; %bb.202:
	s_or_b64 exec, exec, s[8:9]
	s_and_b64 s[2:3], s[2:3], exec
.LBB9_203:
	s_or_saveexec_b64 s[6:7], s[6:7]
	v_bfrev_b32_e32 v4, 4
	v_mov_b32_e32 v5, 0x7ff80000
	s_xor_b64 exec, exec, s[6:7]
; %bb.204:
	v_cmp_ne_u16_e32 vcc, 0, v3
	s_andn2_b64 s[2:3], s[2:3], exec
	s_and_b64 s[8:9], vcc, exec
	v_mov_b64_e32 v[4:5], 0
	s_or_b64 s[2:3], s[2:3], s[8:9]
; %bb.205:
	s_or_b64 exec, exec, s[6:7]
	s_and_saveexec_b64 s[6:7], s[2:3]
	s_cbranch_execz .LBB9_207
; %bb.206:
	v_lshlrev_b32_e32 v4, 24, v3
	v_and_b32_e32 v3, 0xffff, v3
	v_and_b32_e32 v5, 3, v3
	v_ffbh_u32_e32 v7, v5
	v_min_u32_e32 v7, 32, v7
	v_subrev_u32_e32 v8, 29, v7
	v_bfe_u32 v6, v3, 2, 5
	v_lshlrev_b32_e32 v3, v8, v3
	v_sub_u32_e32 v7, 30, v7
	v_and_b32_e32 v3, 3, v3
	v_cmp_eq_u32_e32 vcc, 0, v6
	v_and_b32_e32 v4, 0x80000000, v4
	s_nop 0
	v_cndmask_b32_e32 v6, v6, v7, vcc
	v_cndmask_b32_e32 v3, v5, v3, vcc
	v_mov_b32_e32 v5, 0x37800000
	v_lshlrev_b32_e32 v3, 21, v3
	v_lshl_add_u32 v5, v6, 23, v5
	v_or3_b32 v3, v4, v5, v3
	v_cvt_f64_f32_e32 v[4:5], v3
.LBB9_207:
	s_or_b64 exec, exec, s[6:7]
	s_mov_b64 s[2:3], 0
	s_branch .LBB9_211
.LBB9_208:
	s_mov_b64 s[6:7], -1
                                        ; implicit-def: $vgpr4_vgpr5
	s_branch .LBB9_217
.LBB9_209:
	s_mov_b64 s[2:3], -1
                                        ; implicit-def: $vgpr4_vgpr5
	s_branch .LBB9_214
.LBB9_210:
	s_mov_b64 s[2:3], -1
                                        ; implicit-def: $vgpr4_vgpr5
.LBB9_211:
	s_and_b64 vcc, exec, s[2:3]
	s_cbranch_vccz .LBB9_213
; %bb.212:
	global_load_ubyte v3, v[0:1], off
	s_mov_b32 s2, 0x7f800000
	s_waitcnt vmcnt(0)
	v_lshlrev_b32_e32 v3, 24, v3
	v_and_b32_e32 v4, 0x7f000000, v3
	v_ffbh_u32_e32 v5, v4
	v_min_u32_e32 v5, 32, v5
	v_sub_u32_e64 v5, v5, 4 clamp
	v_lshlrev_b32_e32 v7, v5, v4
	v_lshlrev_b32_e32 v5, 23, v5
	v_lshrrev_b32_e32 v7, 4, v7
	v_add_u32_e32 v6, 0x1000000, v4
	v_sub_u32_e32 v5, v7, v5
	v_ashrrev_i32_e32 v6, 8, v6
	v_add_u32_e32 v5, 0x3c000000, v5
	v_and_or_b32 v5, v6, s2, v5
	v_cmp_ne_u32_e32 vcc, 0, v4
	s_brev_b32 s2, 1
	s_nop 0
	v_cndmask_b32_e32 v4, 0, v5, vcc
	v_and_or_b32 v3, v3, s2, v4
	v_cvt_f64_f32_e32 v[4:5], v3
.LBB9_213:
	s_mov_b64 s[2:3], 0
.LBB9_214:
	s_andn2_b64 vcc, exec, s[2:3]
	s_cbranch_vccnz .LBB9_216
; %bb.215:
	global_load_ubyte v3, v[0:1], off
	s_movk_i32 s2, 0x7f00
	s_brev_b32 s3, 16
	s_waitcnt vmcnt(0)
	v_lshlrev_b16_e32 v4, 8, v3
	v_lshlrev_b32_e32 v3, 25, v3
	v_lshrrev_b32_e32 v5, 4, v3
	v_and_or_b32 v6, v4, s2, 0.5
	v_or_b32_e32 v5, 0x70000000, v5
	v_add_f32_e32 v6, -0.5, v6
	v_mul_f32_e32 v5, 0x7800000, v5
	v_cmp_gt_u32_e32 vcc, s3, v3
	v_bfe_i32 v4, v4, 0, 16
	s_brev_b32 s2, 1
	v_cndmask_b32_e32 v3, v5, v6, vcc
	v_and_or_b32 v3, v4, s2, v3
	v_cvt_f64_f32_e32 v[4:5], v3
.LBB9_216:
	s_mov_b64 s[6:7], 0
	s_mov_b64 s[2:3], -1
.LBB9_217:
	s_andn2_b64 vcc, exec, s[6:7]
	s_cbranch_vccnz .LBB9_228
; %bb.218:
	s_cmp_gt_i32 s10, 14
	s_cbranch_scc0 .LBB9_221
; %bb.219:
	s_cmp_eq_u32 s10, 15
	s_cbranch_scc0 .LBB9_222
; %bb.220:
	global_load_ushort v3, v[0:1], off
	s_mov_b64 s[2:3], -1
	s_mov_b64 s[4:5], 0
	s_waitcnt vmcnt(0)
	v_lshlrev_b32_e32 v3, 16, v3
	v_cvt_f64_f32_e32 v[4:5], v3
	s_branch .LBB9_223
.LBB9_221:
	s_mov_b64 s[6:7], -1
                                        ; implicit-def: $vgpr4_vgpr5
	s_branch .LBB9_224
.LBB9_222:
	s_mov_b64 s[4:5], -1
                                        ; implicit-def: $vgpr4_vgpr5
.LBB9_223:
	s_mov_b64 s[6:7], 0
.LBB9_224:
	s_and_b64 vcc, exec, s[6:7]
	s_cbranch_vccz .LBB9_228
; %bb.225:
	s_cmp_eq_u32 s10, 11
	s_cbranch_scc0 .LBB9_227
; %bb.226:
	global_load_ubyte v3, v[0:1], off
	v_mov_b32_e32 v5, 0x3ff00000
	v_mov_b32_e32 v4, 0
	s_mov_b64 s[2:3], -1
	s_mov_b64 s[4:5], 0
	s_waitcnt vmcnt(0)
	v_cmp_ne_u16_e32 vcc, 0, v3
	s_nop 1
	v_cndmask_b32_e32 v5, 0, v5, vcc
	s_branch .LBB9_228
.LBB9_227:
	s_mov_b64 s[4:5], -1
                                        ; implicit-def: $vgpr4_vgpr5
.LBB9_228:
	s_branch .LBB9_25
.LBB9_229:
	s_cmp_lt_i32 s10, 5
	s_cbranch_scc1 .LBB9_234
; %bb.230:
	s_cmp_lt_i32 s10, 8
	s_cbranch_scc1 .LBB9_235
; %bb.231:
	;; [unrolled: 3-line block ×3, first 2 shown]
	s_cmp_gt_i32 s10, 9
	s_cbranch_scc0 .LBB9_237
; %bb.233:
	global_load_dwordx2 v[4:5], v[0:1], off
	s_mov_b64 s[2:3], 0
	s_branch .LBB9_238
.LBB9_234:
                                        ; implicit-def: $vgpr4_vgpr5
	s_branch .LBB9_256
.LBB9_235:
	s_mov_b64 s[2:3], -1
                                        ; implicit-def: $vgpr4_vgpr5
	s_branch .LBB9_244
.LBB9_236:
	s_mov_b64 s[2:3], -1
                                        ; implicit-def: $vgpr4_vgpr5
	s_branch .LBB9_241
.LBB9_237:
	s_mov_b64 s[2:3], -1
                                        ; implicit-def: $vgpr4_vgpr5
.LBB9_238:
	s_andn2_b64 vcc, exec, s[2:3]
	s_cbranch_vccnz .LBB9_240
; %bb.239:
	global_load_dword v3, v[0:1], off
	s_waitcnt vmcnt(0)
	v_cvt_f64_f32_e32 v[4:5], v3
.LBB9_240:
	s_mov_b64 s[2:3], 0
.LBB9_241:
	s_andn2_b64 vcc, exec, s[2:3]
	s_cbranch_vccnz .LBB9_243
; %bb.242:
	global_load_dword v3, v[0:1], off
	s_waitcnt vmcnt(0)
	v_cvt_f32_f16_e32 v3, v3
	v_cvt_f64_f32_e32 v[4:5], v3
.LBB9_243:
	s_mov_b64 s[2:3], 0
.LBB9_244:
	s_andn2_b64 vcc, exec, s[2:3]
	s_cbranch_vccnz .LBB9_255
; %bb.245:
	s_cmp_lt_i32 s10, 6
	s_cbranch_scc1 .LBB9_248
; %bb.246:
	s_cmp_gt_i32 s10, 6
	s_cbranch_scc0 .LBB9_249
; %bb.247:
	global_load_dwordx2 v[4:5], v[0:1], off
	s_mov_b64 s[2:3], 0
	s_branch .LBB9_250
.LBB9_248:
	s_mov_b64 s[2:3], -1
                                        ; implicit-def: $vgpr4_vgpr5
	s_branch .LBB9_253
.LBB9_249:
	s_mov_b64 s[2:3], -1
                                        ; implicit-def: $vgpr4_vgpr5
.LBB9_250:
	s_andn2_b64 vcc, exec, s[2:3]
	s_cbranch_vccnz .LBB9_252
; %bb.251:
	global_load_dword v3, v[0:1], off
	s_waitcnt vmcnt(0)
	v_cvt_f64_f32_e32 v[4:5], v3
.LBB9_252:
	s_mov_b64 s[2:3], 0
.LBB9_253:
	s_andn2_b64 vcc, exec, s[2:3]
	s_cbranch_vccnz .LBB9_255
; %bb.254:
	global_load_ushort v3, v[0:1], off
	s_waitcnt vmcnt(0)
	v_cvt_f32_f16_e32 v3, v3
	v_cvt_f64_f32_e32 v[4:5], v3
.LBB9_255:
	s_cbranch_execnz .LBB9_275
.LBB9_256:
	s_cmp_lt_i32 s10, 2
	s_cbranch_scc1 .LBB9_260
; %bb.257:
	s_cmp_lt_i32 s10, 3
	s_cbranch_scc1 .LBB9_261
; %bb.258:
	s_cmp_gt_i32 s10, 3
	s_cbranch_scc0 .LBB9_262
; %bb.259:
	global_load_dwordx2 v[4:5], v[0:1], off
	s_mov_b64 s[2:3], 0
	s_waitcnt vmcnt(0)
	v_cvt_f64_i32_e32 v[6:7], v5
	v_cvt_f64_u32_e32 v[4:5], v4
	v_ldexp_f64 v[6:7], v[6:7], 32
	v_add_f64 v[4:5], v[6:7], v[4:5]
	s_branch .LBB9_263
.LBB9_260:
	s_mov_b64 s[2:3], -1
                                        ; implicit-def: $vgpr4_vgpr5
	s_branch .LBB9_269
.LBB9_261:
	s_mov_b64 s[2:3], -1
                                        ; implicit-def: $vgpr4_vgpr5
	s_branch .LBB9_266
.LBB9_262:
	s_mov_b64 s[2:3], -1
                                        ; implicit-def: $vgpr4_vgpr5
.LBB9_263:
	s_andn2_b64 vcc, exec, s[2:3]
	s_cbranch_vccnz .LBB9_265
; %bb.264:
	global_load_dword v3, v[0:1], off
	s_waitcnt vmcnt(0)
	v_cvt_f64_i32_e32 v[4:5], v3
.LBB9_265:
	s_mov_b64 s[2:3], 0
.LBB9_266:
	s_andn2_b64 vcc, exec, s[2:3]
	s_cbranch_vccnz .LBB9_268
; %bb.267:
	global_load_sshort v3, v[0:1], off
	s_waitcnt vmcnt(0)
	v_cvt_f64_i32_e32 v[4:5], v3
.LBB9_268:
	s_mov_b64 s[2:3], 0
.LBB9_269:
	s_andn2_b64 vcc, exec, s[2:3]
	s_cbranch_vccnz .LBB9_275
; %bb.270:
	s_cmp_gt_i32 s10, 0
	s_cbranch_scc0 .LBB9_272
; %bb.271:
	global_load_sbyte v3, v[0:1], off
	s_mov_b64 s[2:3], 0
	s_waitcnt vmcnt(0)
	v_cvt_f64_i32_e32 v[4:5], v3
	s_branch .LBB9_273
.LBB9_272:
	s_mov_b64 s[2:3], -1
                                        ; implicit-def: $vgpr4_vgpr5
.LBB9_273:
	s_andn2_b64 vcc, exec, s[2:3]
	s_cbranch_vccnz .LBB9_275
; %bb.274:
	global_load_ubyte v0, v[0:1], off
	s_waitcnt vmcnt(0)
	v_cvt_f64_u32_e32 v[4:5], v0
.LBB9_275:
	s_branch .LBB9_26
.LBB9_276:
	s_mov_b64 s[2:3], 0
.LBB9_277:
	s_mov_b64 s[6:7], 0
                                        ; implicit-def: $vgpr10
.LBB9_278:
	s_and_b64 s[54:55], s[2:3], exec
	s_and_b64 s[56:57], s[4:5], exec
	s_orn2_b64 s[4:5], s[6:7], exec
.LBB9_279:
	s_or_b64 exec, exec, s[58:59]
	s_mov_b64 s[8:9], 0
	s_mov_b64 s[2:3], 0
                                        ; implicit-def: $vgpr0_vgpr1
                                        ; implicit-def: $vgpr2
                                        ; implicit-def: $vgpr4_vgpr5
	s_and_saveexec_b64 s[58:59], s[4:5]
	s_cbranch_execz .LBB9_287
; %bb.280:
	v_cmp_gt_i32_e32 vcc, s70, v10
	s_mov_b64 s[2:3], -1
	s_mov_b64 s[60:61], s[56:57]
	s_mov_b64 s[62:63], s[54:55]
	s_and_saveexec_b64 s[64:65], vcc
	s_cbranch_execz .LBB9_568
; %bb.281:
	s_andn2_b64 vcc, exec, s[42:43]
	s_cbranch_vccnz .LBB9_290
; %bb.282:
	s_andn2_b64 vcc, exec, s[52:53]
	s_cbranch_vccnz .LBB9_291
; %bb.283:
	s_add_i32 s63, s75, 1
	s_cmp_eq_u32 s72, 2
	s_cbranch_scc1 .LBB9_292
; %bb.284:
	s_and_b32 s62, s63, 28
	s_mov_b32 s66, 0
	v_mov_b32_e32 v2, 0
	v_mov_b32_e32 v0, 0
	s_mov_b64 s[2:3], s[34:35]
	s_mov_b64 s[60:61], s[50:51]
	s_waitcnt vmcnt(0)
	v_mov_b32_e32 v4, v10
.LBB9_285:                              ; =>This Inner Loop Header: Depth=1
	s_load_dwordx8 s[12:19], s[2:3], 0x4
	s_load_dwordx4 s[36:39], s[2:3], 0x24
	s_load_dwordx8 s[4:11], s[60:61], 0x0
	s_add_u32 s2, s2, 48
	s_addc_u32 s3, s3, 0
	s_waitcnt lgkmcnt(0)
	v_mul_hi_u32 v1, s13, v4
	v_add_u32_e32 v1, v4, v1
	v_lshrrev_b32_e32 v1, s14, v1
	v_mul_lo_u32 v3, v1, s12
	v_mul_hi_u32 v5, s16, v1
	v_sub_u32_e32 v3, v4, v3
	v_add_u32_e32 v4, v1, v5
	v_lshrrev_b32_e32 v4, s17, v4
	v_mul_lo_u32 v6, v4, s15
	v_mul_hi_u32 v7, s19, v4
	v_sub_u32_e32 v1, v1, v6
	v_add_u32_e32 v6, v4, v7
	v_mul_lo_u32 v5, v3, s5
	v_mul_lo_u32 v3, v3, s4
	;; [unrolled: 1-line block ×4, first 2 shown]
	v_lshrrev_b32_e32 v6, s36, v6
	v_add3_u32 v1, v3, v2, v1
	v_mul_hi_u32 v3, s38, v6
	v_mul_lo_u32 v2, v6, s18
	v_add_u32_e32 v3, v6, v3
	v_sub_u32_e32 v2, v4, v2
	v_lshrrev_b32_e32 v4, s39, v3
	s_add_i32 s66, s66, 4
	v_mul_lo_u32 v3, v4, s37
	s_add_u32 s60, s60, 32
	v_sub_u32_e32 v3, v6, v3
	s_addc_u32 s61, s61, 0
	v_add3_u32 v0, v5, v0, v7
	v_mul_lo_u32 v5, v2, s8
	v_mul_lo_u32 v2, v2, s9
	;; [unrolled: 1-line block ×4, first 2 shown]
	s_cmp_eq_u32 s62, s66
	v_add3_u32 v0, v2, v0, v3
	v_add3_u32 v2, v5, v1, v6
	s_cbranch_scc0 .LBB9_285
; %bb.286:
	v_mov_b32_e32 v1, v0
	s_branch .LBB9_293
.LBB9_287:
	s_or_b64 exec, exec, s[58:59]
	s_mov_b64 s[4:5], 0
	s_and_saveexec_b64 s[6:7], s[56:57]
	s_cbranch_execnz .LBB9_958
.LBB9_288:
	s_or_b64 exec, exec, s[6:7]
	s_and_saveexec_b64 s[6:7], s[62:63]
	s_xor_b64 s[6:7], exec, s[6:7]
	s_cbranch_execz .LBB9_959
.LBB9_289:
	global_load_ubyte v3, v[0:1], off
	s_waitcnt vmcnt(1)
	v_mov_b32_e32 v5, 0x3ff00000
	v_mov_b32_e32 v4, 0
	s_or_b64 s[2:3], s[2:3], exec
	s_waitcnt vmcnt(0)
	v_cmp_ne_u16_e32 vcc, 0, v3
	s_nop 1
	v_cndmask_b32_e32 v5, 0, v5, vcc
	s_or_b64 exec, exec, s[6:7]
	s_and_saveexec_b64 s[6:7], s[8:9]
	s_cbranch_execz .LBB9_1005
	s_branch .LBB9_960
.LBB9_290:
                                        ; implicit-def: $vgpr0
                                        ; implicit-def: $vgpr2
	s_andn2_b64 vcc, exec, s[2:3]
	s_cbranch_vccz .LBB9_297
	s_branch .LBB9_299
.LBB9_291:
	v_mov_b32_e32 v0, 0
	v_mov_b32_e32 v2, 0
	s_branch .LBB9_296
.LBB9_292:
	v_mov_b32_e32 v2, 0
	s_mov_b32 s62, 0
	v_mov_b32_e32 v1, v2
                                        ; implicit-def: $vgpr0
	s_waitcnt vmcnt(0)
	v_mov_b32_e32 v4, v10
.LBB9_293:
	s_and_b32 s6, s63, 3
	s_cmp_eq_u32 s6, 0
	s_cbranch_scc1 .LBB9_296
; %bb.294:
	s_lshl_b32 s2, s62, 3
	s_add_u32 s2, s34, s2
	s_addc_u32 s3, s35, 0
	s_add_u32 s2, s2, 0xc4
	s_addc_u32 s3, s3, 0
	s_mul_i32 s4, s62, 12
	s_add_u32 s4, s34, s4
	s_addc_u32 s5, s35, 0
.LBB9_295:                              ; =>This Inner Loop Header: Depth=1
	s_load_dwordx2 s[8:9], s[4:5], 0x4
	s_load_dword s7, s[4:5], 0xc
	s_load_dwordx2 s[10:11], s[2:3], 0x0
	v_mov_b32_e32 v0, v1
	s_add_u32 s4, s4, 12
	s_waitcnt lgkmcnt(0)
	v_mul_hi_u32 v1, s9, v4
	v_add_u32_e32 v1, v4, v1
	v_lshrrev_b32_e32 v1, s7, v1
	s_addc_u32 s5, s5, 0
	v_mul_lo_u32 v3, v1, s8
	s_add_u32 s2, s2, 8
	v_sub_u32_e32 v3, v4, v3
	s_addc_u32 s3, s3, 0
	s_add_i32 s6, s6, -1
	v_mov_b32_e32 v4, v1
	v_mad_u64_u32 v[0:1], s[8:9], v3, s11, v[0:1]
	s_cmp_lg_u32 s6, 0
	v_mad_u64_u32 v[2:3], s[8:9], v3, s10, v[2:3]
	v_mov_b32_e32 v1, v0
	s_cbranch_scc1 .LBB9_295
.LBB9_296:
	s_cbranch_execnz .LBB9_299
.LBB9_297:
	s_waitcnt lgkmcnt(0)
	v_mul_hi_u32 v0, s29, v10
	v_add_u32_e32 v0, v10, v0
	v_lshrrev_b32_e32 v1, s30, v0
	v_mul_lo_u32 v0, v1, s28
	v_sub_u32_e32 v2, v10, v0
	v_mul_lo_u32 v0, v2, s25
	s_andn2_b64 vcc, exec, s[48:49]
	v_mul_lo_u32 v2, v2, s24
	s_cbranch_vccnz .LBB9_299
; %bb.298:
	v_mul_hi_u32 v3, s46, v1
	v_add_u32_e32 v3, v1, v3
	v_lshrrev_b32_e32 v3, s47, v3
	v_mul_lo_u32 v3, v3, s31
	v_sub_u32_e32 v1, v1, v3
	v_mad_u64_u32 v[2:3], s[2:3], v1, s26, v[2:3]
	v_mad_u64_u32 v[0:1], s[2:3], v1, s27, v[0:1]
.LBB9_299:
	v_mov_b32_e32 v1, 0
	s_and_b32 s10, 0xffff, s74
	s_cmp_lt_i32 s10, 11
	s_waitcnt lgkmcnt(0)
	v_lshl_add_u64 v[0:1], s[22:23], 0, v[0:1]
	s_cbranch_scc1 .LBB9_306
; %bb.300:
	s_cmp_gt_i32 s10, 25
	s_cbranch_scc0 .LBB9_327
; %bb.301:
	s_cmp_gt_i32 s10, 28
	s_cbranch_scc0 .LBB9_329
	;; [unrolled: 3-line block ×4, first 2 shown]
; %bb.304:
	s_cmp_eq_u32 s10, 46
	s_mov_b64 s[6:7], 0
	s_cbranch_scc0 .LBB9_339
; %bb.305:
	global_load_dword v3, v[0:1], off
	s_mov_b64 s[2:3], -1
	s_mov_b64 s[4:5], 0
	s_waitcnt vmcnt(0)
	v_lshlrev_b32_e32 v3, 16, v3
	v_cvt_f64_f32_e32 v[4:5], v3
	s_branch .LBB9_340
.LBB9_306:
	s_mov_b64 s[2:3], 0
                                        ; implicit-def: $vgpr4_vgpr5
	s_mov_b64 s[4:5], s[56:57]
	s_cbranch_execnz .LBB9_517
.LBB9_307:
	s_andn2_b64 vcc, exec, s[2:3]
	s_cbranch_vccnz .LBB9_565
.LBB9_308:
	s_mov_b32 s2, 0
	s_mov_b32 s3, 0x40200000
	s_waitcnt vmcnt(0)
	v_cmp_le_f64_e64 s[2:3], |v[4:5]|, s[2:3]
                                        ; implicit-def: $vgpr0_vgpr1
	s_and_saveexec_b64 s[6:7], s[2:3]
	s_xor_b64 s[2:3], exec, s[6:7]
	s_cbranch_execz .LBB9_314
; %bb.309:
	s_mov_b32 s6, 0xc3c4014
	v_fma_f64 v[0:1], |v[4:5]|, 0.5, -2.0
	v_mov_b32_e32 v6, 0xc38a0576
	v_mov_b32_e32 v7, 0xbc7857d0
	s_mov_b32 s7, 0x3c499f2a
	v_fmac_f64_e32 v[6:7], s[6:7], v[0:1]
	v_mov_b32_e32 v8, 0xc3c4014
	v_mov_b32_e32 v9, 0xbc499f2a
	s_mov_b32 s6, 0xe593bfac
	v_fmac_f64_e32 v[8:9], v[0:1], v[6:7]
	s_mov_b32 s7, 0x3ca663e3
	v_add_f64 v[8:9], v[8:9], s[6:7]
	s_mov_b32 s6, 0x7e0d1573
	v_fma_f64 v[6:7], v[0:1], v[8:9], -v[6:7]
	s_mov_b32 s7, 0xbcd3eaaa
	v_add_f64 v[6:7], v[6:7], s[6:7]
	s_mov_b32 s6, 0x615290c
	v_fma_f64 v[8:9], v[0:1], v[6:7], -v[8:9]
	;; [unrolled: 4-line block ×26, first 2 shown]
	s_mov_b32 s7, 0x3fd02a63
	v_add_f64 v[0:1], v[0:1], s[6:7]
	v_add_f64 v[0:1], v[0:1], -v[8:9]
	s_mov_b32 s6, 0x652b82fe
	v_mul_f64 v[0:1], v[0:1], 0.5
	s_mov_b32 s7, 0x3ff71547
	v_mul_f64 v[6:7], |v[4:5]|, v[0:1]
	v_mul_f64 v[0:1], |v[4:5]|, s[6:7]
	s_mov_b32 s6, 0xfefa39ef
	v_rndne_f64_e32 v[0:1], v[0:1]
	s_mov_b32 s7, 0xbfe62e42
	v_fma_f64 v[8:9], v[0:1], s[6:7], |v[4:5]|
	s_mov_b32 s6, 0x3b39803f
	s_mov_b32 s7, 0xbc7abc9e
	v_fmac_f64_e32 v[8:9], s[6:7], v[0:1]
	s_mov_b32 s6, 0x6a5dcb37
	v_mov_b32_e32 v12, 0xfca7ab0c
	v_mov_b32_e32 v13, 0x3e928af3
	s_mov_b32 s7, 0x3e5ade15
	v_fmac_f64_e32 v[12:13], s[6:7], v[8:9]
	v_mov_b32_e32 v14, 0x623fde64
	v_mov_b32_e32 v15, 0x3ec71dee
	v_fmac_f64_e32 v[14:15], v[8:9], v[12:13]
	v_mov_b32_e32 v12, 0x7c89e6b0
	v_mov_b32_e32 v13, 0x3efa0199
	;; [unrolled: 3-line block ×8, first 2 shown]
	v_fmac_f64_e32 v[12:13], v[8:9], v[14:15]
	v_fma_f64 v[12:13], v[8:9], v[12:13], 1.0
	v_cmp_ngt_f64_e32 vcc, 0, v[4:5]
	v_fma_f64 v[8:9], v[8:9], v[12:13], 1.0
	v_cvt_i32_f64_e32 v3, v[0:1]
                                        ; implicit-def: $vgpr0_vgpr1
	s_and_saveexec_b64 s[6:7], vcc
	s_xor_b64 s[6:7], exec, s[6:7]
; %bb.310:
	s_mov_b32 s8, 0
	s_mov_b32 s9, 0x40900000
	v_ldexp_f64 v[0:1], v[8:9], v3
	v_mov_b32_e32 v3, 0x7ff00000
	v_cmp_ngt_f64_e64 vcc, |v[4:5]|, s[8:9]
                                        ; implicit-def: $vgpr8_vgpr9
                                        ; implicit-def: $vgpr4_vgpr5
	s_nop 1
	v_cndmask_b32_e32 v1, v3, v1, vcc
	v_cndmask_b32_e32 v0, 0, v0, vcc
	v_mul_f64 v[0:1], v[0:1], v[6:7]
                                        ; implicit-def: $vgpr3
                                        ; implicit-def: $vgpr6_vgpr7
; %bb.311:
	s_andn2_saveexec_b64 s[6:7], s[6:7]
; %bb.312:
	s_mov_b32 s8, 0
	s_mov_b32 s9, 0x40900000
	v_ldexp_f64 v[0:1], -v[8:9], v3
	v_mov_b32_e32 v3, 0xfff00000
	v_cmp_ngt_f64_e64 vcc, |v[4:5]|, s[8:9]
	s_nop 1
	v_cndmask_b32_e32 v1, v3, v1, vcc
	v_cndmask_b32_e32 v0, 0, v0, vcc
	v_mul_f64 v[0:1], v[0:1], v[6:7]
; %bb.313:
	s_or_b64 exec, exec, s[6:7]
                                        ; implicit-def: $vgpr4_vgpr5
.LBB9_314:
	s_andn2_saveexec_b64 s[6:7], s[2:3]
	s_cbranch_execz .LBB9_320
; %bb.315:
	s_mov_b32 s2, 0
	v_and_b32_e32 v1, 0x7fffffff, v5
	v_mov_b32_e32 v0, v4
	s_mov_b32 s3, 0x40400000
	v_div_scale_f64 v[6:7], s[8:9], v[0:1], v[0:1], s[2:3]
	v_rcp_f64_e32 v[8:9], v[6:7]
	v_div_scale_f64 v[0:1], vcc, s[2:3], v[0:1], s[2:3]
	v_mov_b32_e32 v14, 0xfca7ab0c
	v_fma_f64 v[12:13], -v[6:7], v[8:9], 1.0
	v_fmac_f64_e32 v[8:9], v[8:9], v[12:13]
	v_fma_f64 v[12:13], -v[6:7], v[8:9], 1.0
	v_fmac_f64_e32 v[8:9], v[8:9], v[12:13]
	v_mul_f64 v[12:13], v[0:1], v[8:9]
	v_fma_f64 v[0:1], -v[6:7], v[12:13], v[0:1]
	v_div_fmas_f64 v[0:1], v[0:1], v[8:9], v[12:13]
	v_div_fixup_f64 v[0:1], v[0:1], |v[4:5]|, s[2:3]
	s_mov_b32 s2, 0xb352e8e6
	v_add_f64 v[0:1], v[0:1], -2.0
	v_mov_b32_e32 v6, 0xea87b950
	v_mov_b32_e32 v7, 0x3c545b8a
	s_mov_b32 s3, 0x3c61556d
	v_fmac_f64_e32 v[6:7], s[2:3], v[0:1]
	v_mov_b32_e32 v8, 0xb352e8e6
	v_mov_b32_e32 v9, 0xbc61556d
	s_mov_b32 s2, 0xb2532277
	v_fmac_f64_e32 v[8:9], v[0:1], v[6:7]
	s_mov_b32 s3, 0xbc8acea3
	v_add_f64 v[8:9], v[8:9], s[2:3]
	s_mov_b32 s2, 0x9c773320
	v_fma_f64 v[6:7], v[0:1], v[8:9], -v[6:7]
	s_mov_b32 s3, 0xbc82806c
	v_add_f64 v[6:7], v[6:7], s[2:3]
	s_mov_b32 s2, 0xfceb588a
	v_fma_f64 v[8:9], v[0:1], v[6:7], -v[8:9]
	;; [unrolled: 4-line block ×22, first 2 shown]
	s_mov_b32 s3, 0x3fe8ea18
	v_add_f64 v[0:1], v[0:1], s[2:3]
	s_mov_b32 s2, 0x652b82fe
	s_mov_b32 s3, 0x3ff71547
	v_mul_f64 v[6:7], |v[4:5]|, s[2:3]
	s_mov_b32 s2, 0xfefa39ef
	v_rndne_f64_e32 v[6:7], v[6:7]
	s_mov_b32 s3, 0xbfe62e42
	v_fma_f64 v[12:13], v[6:7], s[2:3], |v[4:5]|
	s_mov_b32 s2, 0x3b39803f
	s_mov_b32 s3, 0xbc7abc9e
	v_fmac_f64_e32 v[12:13], s[2:3], v[6:7]
	s_mov_b32 s2, 0x6a5dcb37
	v_mov_b32_e32 v15, 0x3e928af3
	s_mov_b32 s3, 0x3e5ade15
	v_fmac_f64_e32 v[14:15], s[2:3], v[12:13]
	v_mov_b32_e32 v16, 0x623fde64
	v_mov_b32_e32 v17, 0x3ec71dee
	v_fmac_f64_e32 v[16:17], v[12:13], v[14:15]
	v_mov_b32_e32 v14, 0x7c89e6b0
	v_mov_b32_e32 v15, 0x3efa0199
	;; [unrolled: 3-line block ×8, first 2 shown]
	v_fmac_f64_e32 v[14:15], v[12:13], v[16:17]
	v_fma_f64 v[14:15], v[12:13], v[14:15], 1.0
	s_mov_b32 s2, 0
	v_fma_f64 v[12:13], v[12:13], v[14:15], 1.0
	v_cvt_i32_f64_e32 v3, v[6:7]
	s_mov_b32 s3, 0x40900000
	v_ldexp_f64 v[6:7], v[12:13], v3
	v_mov_b32_e32 v3, 0x7ff00000
	v_cmp_ngt_f64_e64 s[2:3], |v[4:5]|, s[2:3]
	v_cmp_ngt_f64_e32 vcc, 0, v[4:5]
	v_add_f64 v[8:9], v[0:1], -v[8:9]
	v_cndmask_b32_e64 v7, v3, v7, s[2:3]
	v_cndmask_b32_e64 v6, 0, v6, s[2:3]
                                        ; implicit-def: $vgpr0_vgpr1
	s_and_saveexec_b64 s[2:3], vcc
	s_xor_b64 s[2:3], exec, s[2:3]
	s_cbranch_execz .LBB9_317
; %bb.316:
	s_mov_b32 s8, 0
	s_brev_b32 s9, 8
	v_mov_b32_e32 v0, 0x100
	v_cmp_lt_f64_e64 vcc, |v[4:5]|, s[8:9]
	v_mul_f64 v[8:9], v[8:9], 0.5
	v_mul_f64 v[6:7], v[6:7], v[8:9]
	v_cndmask_b32_e32 v0, 0, v0, vcc
	v_ldexp_f64 v[0:1], |v[4:5]|, v0
	v_rsq_f64_e32 v[4:5], v[0:1]
	v_mov_b32_e32 v3, 0xffffff80
	v_cndmask_b32_e32 v3, 0, v3, vcc
	v_mul_f64 v[8:9], v[0:1], v[4:5]
	v_mul_f64 v[4:5], v[4:5], 0.5
	v_fma_f64 v[12:13], -v[4:5], v[8:9], 0.5
	v_fmac_f64_e32 v[8:9], v[8:9], v[12:13]
	v_fma_f64 v[14:15], -v[8:9], v[8:9], v[0:1]
	v_fmac_f64_e32 v[4:5], v[4:5], v[12:13]
	v_fmac_f64_e32 v[8:9], v[14:15], v[4:5]
	v_fma_f64 v[12:13], -v[8:9], v[8:9], v[0:1]
	v_fmac_f64_e32 v[8:9], v[12:13], v[4:5]
	v_ldexp_f64 v[4:5], v[8:9], v3
	v_mov_b32_e32 v3, 0x260
	v_cmp_class_f64_e32 vcc, v[0:1], v3
	s_nop 1
	v_cndmask_b32_e32 v1, v5, v1, vcc
	v_cndmask_b32_e32 v0, v4, v0, vcc
	v_div_scale_f64 v[4:5], s[8:9], v[0:1], v[0:1], v[6:7]
	v_rcp_f64_e32 v[8:9], v[4:5]
	s_nop 0
	v_fma_f64 v[12:13], -v[4:5], v[8:9], 1.0
	v_fmac_f64_e32 v[8:9], v[8:9], v[12:13]
	v_fma_f64 v[12:13], -v[4:5], v[8:9], 1.0
	v_fmac_f64_e32 v[8:9], v[8:9], v[12:13]
	v_div_scale_f64 v[12:13], vcc, v[6:7], v[0:1], v[6:7]
	v_mul_f64 v[14:15], v[12:13], v[8:9]
	v_fma_f64 v[4:5], -v[4:5], v[14:15], v[12:13]
	s_nop 1
	v_div_fmas_f64 v[4:5], v[4:5], v[8:9], v[14:15]
	v_div_fixup_f64 v[0:1], v[4:5], v[0:1], v[6:7]
                                        ; implicit-def: $vgpr4_vgpr5
                                        ; implicit-def: $vgpr8_vgpr9
                                        ; implicit-def: $vgpr6_vgpr7
.LBB9_317:
	s_andn2_saveexec_b64 s[2:3], s[2:3]
	s_cbranch_execz .LBB9_319
; %bb.318:
	s_mov_b32 s8, 0
	s_brev_b32 s9, 8
	v_mov_b32_e32 v0, 0x100
	v_cmp_lt_f64_e64 vcc, |v[4:5]|, s[8:9]
	v_mov_b32_e32 v3, 0xffffff80
	s_nop 0
	v_cndmask_b32_e32 v0, 0, v0, vcc
	v_ldexp_f64 v[0:1], |v[4:5]|, v0
	v_rsq_f64_e32 v[4:5], v[0:1]
	v_cndmask_b32_e32 v3, 0, v3, vcc
	v_mul_f64 v[12:13], v[0:1], v[4:5]
	v_mul_f64 v[4:5], v[4:5], 0.5
	v_fma_f64 v[14:15], -v[4:5], v[12:13], 0.5
	v_fmac_f64_e32 v[12:13], v[12:13], v[14:15]
	v_fma_f64 v[16:17], -v[12:13], v[12:13], v[0:1]
	v_fmac_f64_e32 v[4:5], v[4:5], v[14:15]
	v_fmac_f64_e32 v[12:13], v[16:17], v[4:5]
	v_fma_f64 v[14:15], -v[12:13], v[12:13], v[0:1]
	v_fmac_f64_e32 v[12:13], v[14:15], v[4:5]
	v_ldexp_f64 v[4:5], v[12:13], v3
	v_mov_b32_e32 v3, 0x260
	v_cmp_class_f64_e32 vcc, v[0:1], v3
	s_nop 1
	v_cndmask_b32_e32 v1, v5, v1, vcc
	v_cndmask_b32_e32 v0, v4, v0, vcc
	v_mul_f64 v[4:5], v[8:9], -0.5
	v_mul_f64 v[4:5], v[6:7], v[4:5]
	v_div_scale_f64 v[6:7], s[8:9], v[0:1], v[0:1], v[4:5]
	v_rcp_f64_e32 v[8:9], v[6:7]
	s_nop 0
	v_fma_f64 v[12:13], -v[6:7], v[8:9], 1.0
	v_fmac_f64_e32 v[8:9], v[8:9], v[12:13]
	v_fma_f64 v[12:13], -v[6:7], v[8:9], 1.0
	v_fmac_f64_e32 v[8:9], v[8:9], v[12:13]
	v_div_scale_f64 v[12:13], vcc, v[4:5], v[0:1], v[4:5]
	v_mul_f64 v[14:15], v[12:13], v[8:9]
	v_fma_f64 v[6:7], -v[6:7], v[14:15], v[12:13]
	s_nop 1
	v_div_fmas_f64 v[6:7], v[6:7], v[8:9], v[14:15]
	v_div_fixup_f64 v[0:1], v[6:7], v[0:1], v[4:5]
.LBB9_319:
	s_or_b64 exec, exec, s[2:3]
.LBB9_320:
	s_or_b64 exec, exec, s[6:7]
	v_mov_b32_e32 v3, 0
	s_and_b32 s12, s73, 0xff
	s_cmp_lt_i32 s12, 11
	v_lshl_add_u64 v[4:5], s[20:21], 0, v[2:3]
	s_cbranch_scc1 .LBB9_328
; %bb.321:
	s_and_b32 s13, 0xffff, s12
	s_cmp_gt_i32 s13, 25
	s_cbranch_scc0 .LBB9_330
; %bb.322:
	s_cmp_gt_i32 s13, 28
	s_cbranch_scc0 .LBB9_332
; %bb.323:
	;; [unrolled: 3-line block ×4, first 2 shown]
	s_mov_b64 s[8:9], 0
	s_mov_b64 s[2:3], -1
	s_cmp_eq_u32 s13, 46
	s_mov_b64 s[6:7], 0
	s_cbranch_scc0 .LBB9_344
; %bb.326:
	v_cvt_f32_f64_e32 v2, v[0:1]
	v_bfe_u32 v3, v2, 16, 1
	s_movk_i32 s2, 0x7fff
	v_add3_u32 v3, v2, v3, s2
	v_cmp_o_f32_e32 vcc, v2, v2
	v_mov_b32_e32 v2, 0x7fc0
	s_mov_b64 s[6:7], -1
	v_cndmask_b32_sdwa v2, v2, v3, vcc dst_sel:DWORD dst_unused:UNUSED_PAD src0_sel:DWORD src1_sel:WORD_1
	global_store_dword v[4:5], v2, off
	s_mov_b64 s[2:3], 0
	s_branch .LBB9_344
.LBB9_327:
	s_mov_b64 s[6:7], -1
	s_mov_b64 s[2:3], 0
	s_mov_b64 s[4:5], s[56:57]
                                        ; implicit-def: $vgpr4_vgpr5
	s_branch .LBB9_483
.LBB9_328:
	s_mov_b64 s[8:9], -1
	s_mov_b64 s[6:7], 0
	s_mov_b64 s[2:3], s[54:55]
	s_branch .LBB9_413
.LBB9_329:
	s_mov_b64 s[6:7], -1
	s_mov_b64 s[2:3], 0
	s_mov_b64 s[4:5], s[56:57]
                                        ; implicit-def: $vgpr4_vgpr5
	s_branch .LBB9_462
.LBB9_330:
	s_mov_b64 s[8:9], -1
	s_mov_b64 s[6:7], 0
	s_mov_b64 s[2:3], s[54:55]
	s_branch .LBB9_371
.LBB9_331:
	s_mov_b64 s[6:7], -1
	s_mov_b64 s[2:3], 0
	s_mov_b64 s[4:5], s[56:57]
                                        ; implicit-def: $vgpr4_vgpr5
	s_branch .LBB9_457
.LBB9_332:
	s_mov_b64 s[8:9], -1
	s_mov_b64 s[6:7], 0
	s_mov_b64 s[2:3], s[54:55]
	s_branch .LBB9_354
.LBB9_333:
	s_andn2_saveexec_b64 s[10:11], s[10:11]
	s_cbranch_execz .LBB9_81
.LBB9_334:
	s_mov_b32 s14, 0x46000000
	v_add_f32_e64 v3, |v2|, s14
	v_and_b32_e32 v3, 0xff, v3
	v_cmp_ne_u32_e32 vcc, 0, v3
	s_andn2_b64 s[8:9], s[8:9], exec
	s_and_b64 s[14:15], vcc, exec
	s_or_b64 s[8:9], s[8:9], s[14:15]
	s_or_b64 exec, exec, s[10:11]
	v_mov_b32_e32 v6, 0
	s_and_saveexec_b64 s[10:11], s[8:9]
	s_cbranch_execnz .LBB9_82
	s_branch .LBB9_83
.LBB9_335:
	s_mov_b64 s[6:7], -1
	s_mov_b64 s[2:3], 0
	s_mov_b64 s[4:5], s[56:57]
                                        ; implicit-def: $vgpr4_vgpr5
	s_branch .LBB9_340
.LBB9_336:
	s_mov_b64 s[8:9], -1
	s_mov_b64 s[6:7], 0
	s_mov_b64 s[2:3], s[54:55]
	s_branch .LBB9_350
.LBB9_337:
	s_andn2_saveexec_b64 s[10:11], s[10:11]
	s_cbranch_execz .LBB9_94
.LBB9_338:
	s_mov_b32 s14, 0x42800000
	v_add_f32_e64 v3, |v2|, s14
	v_and_b32_e32 v3, 0xff, v3
	v_cmp_ne_u32_e32 vcc, 0, v3
	s_andn2_b64 s[8:9], s[8:9], exec
	s_and_b64 s[14:15], vcc, exec
	s_or_b64 s[8:9], s[8:9], s[14:15]
	s_or_b64 exec, exec, s[10:11]
	v_mov_b32_e32 v6, 0
	s_and_saveexec_b64 s[10:11], s[8:9]
	s_cbranch_execnz .LBB9_95
	s_branch .LBB9_96
.LBB9_339:
	s_mov_b64 s[4:5], -1
                                        ; implicit-def: $vgpr4_vgpr5
	s_mov_b64 s[2:3], 0
.LBB9_340:
	s_and_b64 vcc, exec, s[6:7]
	s_cbranch_vccz .LBB9_456
; %bb.341:
	s_cmp_eq_u32 s10, 44
	s_cbranch_scc0 .LBB9_455
; %bb.342:
	global_load_ubyte v3, v[0:1], off
	s_movk_i32 s4, 0xff
	v_bfrev_b32_e32 v6, 4
	v_mov_b32_e32 v7, 0x7ff80000
	v_bfrev_b32_e32 v8, 28
	s_mov_b64 s[2:3], -1
	s_waitcnt vmcnt(0)
	v_lshlrev_b32_e32 v4, 23, v3
	v_cvt_f64_f32_e32 v[4:5], v4
	v_cmp_ne_u32_e32 vcc, s4, v3
	s_mov_b64 s[4:5], 0
	s_nop 0
	v_cndmask_b32_e32 v4, v6, v4, vcc
	v_cndmask_b32_e32 v5, v7, v5, vcc
	v_cmp_ne_u32_e32 vcc, 0, v3
	s_nop 1
	v_cndmask_b32_e32 v5, v8, v5, vcc
	v_cndmask_b32_e32 v4, 0, v4, vcc
	s_branch .LBB9_456
.LBB9_343:
	s_mov_b64 s[8:9], -1
	s_mov_b64 s[6:7], 0
	s_mov_b64 s[2:3], s[54:55]
.LBB9_344:
	s_and_b64 vcc, exec, s[8:9]
	s_cbranch_vccz .LBB9_349
; %bb.345:
	s_cmp_eq_u32 s13, 44
	s_mov_b64 s[2:3], -1
	s_cbranch_scc0 .LBB9_349
; %bb.346:
	v_cvt_f32_f64_e32 v2, v[0:1]
	v_bfe_u32 v3, v2, 23, 8
	s_movk_i32 s2, 0xff
	v_cmp_ne_u32_e32 vcc, s2, v3
	v_mov_b32_e32 v6, 0xff
	s_and_saveexec_b64 s[6:7], vcc
; %bb.347:
	s_mov_b32 s2, 0x3fffff
	v_lshrrev_b32_e32 v6, 23, v2
	v_and_b32_e32 v7, 0x400000, v2
	v_and_or_b32 v2, v2, s2, v3
	v_cmp_ne_u32_e32 vcc, 0, v7
	v_cmp_ne_u32_e64 s[2:3], 0, v2
	s_and_b64 s[2:3], vcc, s[2:3]
	s_nop 0
	v_cndmask_b32_e64 v2, 0, 1, s[2:3]
	v_add_u32_e32 v6, v6, v2
; %bb.348:
	s_or_b64 exec, exec, s[6:7]
	s_mov_b64 s[6:7], -1
	s_mov_b64 s[2:3], 0
	global_store_byte v[4:5], v6, off
.LBB9_349:
	s_mov_b64 s[8:9], 0
.LBB9_350:
	s_and_b64 vcc, exec, s[8:9]
	s_cbranch_vccz .LBB9_353
; %bb.351:
	s_cmp_eq_u32 s13, 29
	s_mov_b64 s[2:3], -1
	s_cbranch_scc0 .LBB9_353
; %bb.352:
	v_trunc_f64_e32 v[2:3], v[0:1]
	s_movk_i32 s2, 0xffe0
	v_ldexp_f64 v[6:7], v[2:3], s2
	v_floor_f64_e32 v[6:7], v[6:7]
	v_fmac_f64_e32 v[2:3], 0xc1f00000, v[6:7]
	v_cvt_u32_f64_e32 v9, v[6:7]
	v_cvt_u32_f64_e32 v8, v[2:3]
	global_store_dwordx2 v[4:5], v[8:9], off
	s_mov_b64 s[6:7], -1
	s_mov_b64 s[2:3], 0
.LBB9_353:
	s_mov_b64 s[8:9], 0
.LBB9_354:
	s_and_b64 vcc, exec, s[8:9]
	s_cbranch_vccz .LBB9_370
; %bb.355:
	s_cmp_lt_i32 s13, 27
	s_mov_b64 s[6:7], -1
	s_cbranch_scc1 .LBB9_361
; %bb.356:
	s_cmp_gt_i32 s13, 27
	v_cvt_u32_f64_e32 v2, v[0:1]
	s_cbranch_scc0 .LBB9_358
; %bb.357:
	s_mov_b64 s[6:7], 0
	global_store_dword v[4:5], v2, off
.LBB9_358:
	s_andn2_b64 vcc, exec, s[6:7]
	s_cbranch_vccnz .LBB9_360
; %bb.359:
	global_store_short v[4:5], v2, off
.LBB9_360:
	s_mov_b64 s[6:7], 0
.LBB9_361:
	s_andn2_b64 vcc, exec, s[6:7]
	s_cbranch_vccnz .LBB9_369
; %bb.362:
	v_cvt_f32_f64_e32 v2, v[0:1]
	v_and_b32_e32 v3, 0x7fffffff, v2
	s_mov_b32 s6, 0x43800000
	v_cmp_gt_u32_e32 vcc, s6, v3
	v_mov_b32_e32 v6, 0x80
	s_and_saveexec_b64 s[6:7], vcc
	s_cbranch_execz .LBB9_368
; %bb.363:
	s_mov_b32 s8, 0x3bffffff
	v_cmp_lt_u32_e32 vcc, s8, v3
	s_mov_b64 s[8:9], 0
                                        ; implicit-def: $vgpr3
	s_and_saveexec_b64 s[10:11], vcc
	s_xor_b64 s[10:11], exec, s[10:11]
	s_cbranch_execz .LBB9_597
; %bb.364:
	v_bfe_u32 v3, v2, 20, 1
	s_mov_b32 s14, 0x487ffff
	v_add3_u32 v3, v2, v3, s14
	s_mov_b64 s[8:9], exec
	v_lshrrev_b32_e32 v3, 20, v3
	s_andn2_saveexec_b64 s[10:11], s[10:11]
	s_cbranch_execnz .LBB9_598
.LBB9_365:
	s_or_b64 exec, exec, s[10:11]
	v_mov_b32_e32 v6, 0
	s_and_saveexec_b64 s[10:11], s[8:9]
.LBB9_366:
	v_lshrrev_b32_e32 v2, 24, v2
	s_movk_i32 s8, 0x80
	v_and_or_b32 v6, v2, s8, v3
.LBB9_367:
	s_or_b64 exec, exec, s[10:11]
.LBB9_368:
	s_or_b64 exec, exec, s[6:7]
	global_store_byte v[4:5], v6, off
.LBB9_369:
	s_mov_b64 s[6:7], -1
.LBB9_370:
	s_mov_b64 s[8:9], 0
.LBB9_371:
	s_and_b64 vcc, exec, s[8:9]
	s_cbranch_vccz .LBB9_412
; %bb.372:
	s_cmp_gt_i32 s13, 22
	s_mov_b64 s[8:9], -1
	s_cbranch_scc0 .LBB9_404
; %bb.373:
	s_cmp_lt_i32 s13, 24
	s_mov_b64 s[6:7], -1
	s_cbranch_scc1 .LBB9_393
; %bb.374:
	s_cmp_gt_i32 s13, 24
	s_cbranch_scc0 .LBB9_382
; %bb.375:
	v_cvt_f32_f64_e32 v2, v[0:1]
	v_and_b32_e32 v3, 0x7fffffff, v2
	s_mov_b32 s6, 0x47800000
	v_cmp_gt_u32_e32 vcc, s6, v3
	v_mov_b32_e32 v6, 0x80
	s_and_saveexec_b64 s[6:7], vcc
	s_cbranch_execz .LBB9_381
; %bb.376:
	s_mov_b32 s8, 0x37ffffff
	v_cmp_lt_u32_e32 vcc, s8, v3
	s_mov_b64 s[8:9], 0
                                        ; implicit-def: $vgpr3
	s_and_saveexec_b64 s[10:11], vcc
	s_xor_b64 s[10:11], exec, s[10:11]
	s_cbranch_execz .LBB9_600
; %bb.377:
	v_bfe_u32 v3, v2, 21, 1
	s_mov_b32 s14, 0x88fffff
	v_add3_u32 v3, v2, v3, s14
	s_mov_b64 s[8:9], exec
	v_lshrrev_b32_e32 v3, 21, v3
	s_andn2_saveexec_b64 s[10:11], s[10:11]
	s_cbranch_execnz .LBB9_601
.LBB9_378:
	s_or_b64 exec, exec, s[10:11]
	v_mov_b32_e32 v6, 0
	s_and_saveexec_b64 s[10:11], s[8:9]
.LBB9_379:
	v_lshrrev_b32_e32 v2, 24, v2
	s_movk_i32 s8, 0x80
	v_and_or_b32 v6, v2, s8, v3
.LBB9_380:
	s_or_b64 exec, exec, s[10:11]
.LBB9_381:
	s_or_b64 exec, exec, s[6:7]
	s_mov_b64 s[6:7], 0
	global_store_byte v[4:5], v6, off
.LBB9_382:
	s_and_b64 vcc, exec, s[6:7]
	s_cbranch_vccz .LBB9_392
; %bb.383:
	v_cvt_f32_f64_e32 v2, v[0:1]
	v_and_b32_e32 v6, 0x7fffffff, v2
	s_mov_b32 s6, 0x43f00000
	v_cmp_gt_u32_e32 vcc, s6, v6
                                        ; implicit-def: $vgpr3
	s_and_saveexec_b64 s[6:7], vcc
	s_xor_b64 s[6:7], exec, s[6:7]
	s_cbranch_execz .LBB9_389
; %bb.384:
	s_mov_b32 s8, 0x3c7fffff
	v_cmp_lt_u32_e32 vcc, s8, v6
                                        ; implicit-def: $vgpr3
	s_and_saveexec_b64 s[8:9], vcc
	s_xor_b64 s[8:9], exec, s[8:9]
; %bb.385:
	v_bfe_u32 v3, v2, 20, 1
	s_mov_b32 s10, 0x407ffff
	v_add3_u32 v3, v2, v3, s10
	v_lshrrev_b32_e32 v6, 20, v3
	v_and_b32_e32 v3, 0xff00000, v3
	s_mov_b32 s10, 0x7f00000
	v_mov_b32_e32 v7, 0x7e
	v_cmp_ne_u32_e32 vcc, s10, v3
	s_nop 1
	v_cndmask_b32_e32 v3, v7, v6, vcc
; %bb.386:
	s_andn2_saveexec_b64 s[8:9], s[8:9]
; %bb.387:
	s_mov_b32 s10, 0x46800000
	v_add_f32_e64 v3, |v2|, s10
; %bb.388:
	s_or_b64 exec, exec, s[8:9]
                                        ; implicit-def: $vgpr6
.LBB9_389:
	s_andn2_saveexec_b64 s[6:7], s[6:7]
; %bb.390:
	s_mov_b32 s8, 0x7f800000
	v_mov_b32_e32 v3, 0x7e
	v_mov_b32_e32 v7, 0x7f
	v_cmp_lt_u32_e32 vcc, s8, v6
	s_nop 1
	v_cndmask_b32_e32 v3, v3, v7, vcc
; %bb.391:
	s_or_b64 exec, exec, s[6:7]
	v_lshrrev_b32_e32 v2, 24, v2
	s_movk_i32 s6, 0x80
	v_and_or_b32 v2, v2, s6, v3
	global_store_byte v[4:5], v2, off
.LBB9_392:
	s_mov_b64 s[6:7], 0
.LBB9_393:
	s_andn2_b64 vcc, exec, s[6:7]
	s_cbranch_vccnz .LBB9_403
; %bb.394:
	v_cvt_f32_f64_e32 v2, v[0:1]
	v_and_b32_e32 v6, 0x7fffffff, v2
	s_mov_b32 s6, 0x47800000
	v_cmp_gt_u32_e32 vcc, s6, v6
                                        ; implicit-def: $vgpr3
	s_and_saveexec_b64 s[6:7], vcc
	s_xor_b64 s[6:7], exec, s[6:7]
	s_cbranch_execz .LBB9_400
; %bb.395:
	s_mov_b32 s8, 0x387fffff
	v_cmp_lt_u32_e32 vcc, s8, v6
                                        ; implicit-def: $vgpr3
	s_and_saveexec_b64 s[8:9], vcc
	s_xor_b64 s[8:9], exec, s[8:9]
; %bb.396:
	v_bfe_u32 v3, v2, 21, 1
	s_mov_b32 s10, 0x80fffff
	v_add3_u32 v3, v2, v3, s10
	v_lshrrev_b32_e32 v3, 21, v3
; %bb.397:
	s_andn2_saveexec_b64 s[8:9], s[8:9]
; %bb.398:
	s_mov_b32 s10, 0x43000000
	v_add_f32_e64 v3, |v2|, s10
; %bb.399:
	s_or_b64 exec, exec, s[8:9]
                                        ; implicit-def: $vgpr6
.LBB9_400:
	s_andn2_saveexec_b64 s[6:7], s[6:7]
; %bb.401:
	s_mov_b32 s8, 0x7f800000
	v_mov_b32_e32 v3, 0x7c
	v_mov_b32_e32 v7, 0x7f
	v_cmp_lt_u32_e32 vcc, s8, v6
	s_nop 1
	v_cndmask_b32_e32 v3, v3, v7, vcc
; %bb.402:
	s_or_b64 exec, exec, s[6:7]
	v_lshrrev_b32_e32 v2, 24, v2
	s_movk_i32 s6, 0x80
	v_and_or_b32 v2, v2, s6, v3
	global_store_byte v[4:5], v2, off
.LBB9_403:
	s_mov_b64 s[8:9], 0
	s_mov_b64 s[6:7], -1
.LBB9_404:
	s_andn2_b64 vcc, exec, s[8:9]
	s_cbranch_vccnz .LBB9_412
; %bb.405:
	s_cmp_gt_i32 s13, 14
	s_mov_b64 s[8:9], -1
	s_cbranch_scc0 .LBB9_409
; %bb.406:
	s_cmp_eq_u32 s13, 15
	s_mov_b64 s[2:3], -1
	s_cbranch_scc0 .LBB9_408
; %bb.407:
	v_cvt_f32_f64_e32 v2, v[0:1]
	v_bfe_u32 v3, v2, 16, 1
	s_movk_i32 s2, 0x7fff
	v_add3_u32 v3, v2, v3, s2
	v_cmp_o_f32_e32 vcc, v2, v2
	v_mov_b32_e32 v2, 0x7fc0
	s_mov_b64 s[6:7], -1
	v_cndmask_b32_sdwa v2, v2, v3, vcc dst_sel:DWORD dst_unused:UNUSED_PAD src0_sel:DWORD src1_sel:WORD_1
	global_store_short v[4:5], v2, off
	s_mov_b64 s[2:3], 0
.LBB9_408:
	s_mov_b64 s[8:9], 0
.LBB9_409:
	s_and_b64 vcc, exec, s[8:9]
	s_cbranch_vccz .LBB9_412
; %bb.410:
	s_cmp_eq_u32 s13, 11
	s_mov_b64 s[2:3], -1
	s_cbranch_scc0 .LBB9_412
; %bb.411:
	v_cmp_neq_f64_e32 vcc, 0, v[0:1]
	s_mov_b64 s[2:3], 0
	s_mov_b64 s[6:7], -1
	v_cndmask_b32_e64 v2, 0, 1, vcc
	global_store_byte v[4:5], v2, off
.LBB9_412:
	s_mov_b64 s[8:9], 0
.LBB9_413:
	s_and_b64 vcc, exec, s[8:9]
	s_cbranch_vccz .LBB9_452
; %bb.414:
	s_and_b32 s8, 0xffff, s12
	s_cmp_lt_i32 s8, 5
	s_mov_b64 s[6:7], -1
	s_cbranch_scc1 .LBB9_435
; %bb.415:
	s_cmp_lt_i32 s8, 8
	s_cbranch_scc1 .LBB9_425
; %bb.416:
	s_cmp_lt_i32 s8, 9
	s_cbranch_scc1 .LBB9_422
; %bb.417:
	s_cmp_gt_i32 s8, 9
	s_cbranch_scc0 .LBB9_419
; %bb.418:
	v_mov_b32_e32 v2, 0
	v_mov_b32_e32 v3, v2
	s_mov_b64 s[6:7], 0
	global_store_dwordx4 v[4:5], v[0:3], off
.LBB9_419:
	s_andn2_b64 vcc, exec, s[6:7]
	s_cbranch_vccnz .LBB9_421
; %bb.420:
	v_cvt_f32_f64_e32 v2, v[0:1]
	v_mov_b32_e32 v3, 0
	global_store_dwordx2 v[4:5], v[2:3], off
.LBB9_421:
	s_mov_b64 s[6:7], 0
.LBB9_422:
	s_andn2_b64 vcc, exec, s[6:7]
	s_cbranch_vccnz .LBB9_424
; %bb.423:
	s_movk_i32 s6, 0x1ff
	v_and_or_b32 v2, v1, s6, v0
	v_cmp_ne_u32_e32 vcc, 0, v2
	v_lshrrev_b32_e32 v3, 8, v1
	s_movk_i32 s6, 0xffe
	v_cndmask_b32_e64 v2, 0, 1, vcc
	v_bfe_u32 v6, v1, 20, 11
	v_and_or_b32 v2, v3, s6, v2
	v_sub_u32_e32 v7, 0x3f1, v6
	v_or_b32_e32 v3, 0x1000, v2
	v_med3_i32 v7, v7, 0, 13
	v_lshrrev_b32_e32 v8, v7, v3
	v_lshlrev_b32_e32 v7, v7, v8
	v_cmp_ne_u32_e32 vcc, v7, v3
	v_add_u32_e32 v6, 0xfffffc10, v6
	v_lshl_or_b32 v7, v6, 12, v2
	v_cndmask_b32_e64 v3, 0, 1, vcc
	v_or_b32_e32 v3, v8, v3
	v_cmp_gt_i32_e32 vcc, 1, v6
	s_movk_i32 s6, 0x40f
	s_nop 0
	v_cndmask_b32_e32 v3, v7, v3, vcc
	v_and_b32_e32 v7, 7, v3
	v_cmp_lt_i32_e32 vcc, 5, v7
	v_lshrrev_b32_e32 v3, 2, v3
	s_nop 0
	v_cndmask_b32_e64 v8, 0, 1, vcc
	v_cmp_eq_u32_e32 vcc, 3, v7
	s_nop 1
	v_cndmask_b32_e64 v7, 0, 1, vcc
	v_or_b32_e32 v7, v7, v8
	v_add_u32_e32 v3, v3, v7
	v_mov_b32_e32 v7, 0x7c00
	v_cmp_gt_i32_e32 vcc, 31, v6
	v_mov_b32_e32 v8, 0x7e00
	s_nop 0
	v_cndmask_b32_e32 v3, v7, v3, vcc
	v_cmp_ne_u32_e32 vcc, 0, v2
	s_nop 1
	v_cndmask_b32_e32 v2, v7, v8, vcc
	v_cmp_eq_u32_e32 vcc, s6, v6
	s_mov_b32 s6, 0x8000
	s_nop 0
	v_cndmask_b32_e32 v2, v3, v2, vcc
	v_and_b32_sdwa v3, v1, s6 dst_sel:DWORD dst_unused:UNUSED_PAD src0_sel:WORD_1 src1_sel:DWORD
	s_mov_b32 s6, 0xffff
	v_bitop3_b32 v2, v3, s6, v2 bitop3:0xc8
	global_store_dword v[4:5], v2, off
.LBB9_424:
	s_mov_b64 s[6:7], 0
.LBB9_425:
	s_andn2_b64 vcc, exec, s[6:7]
	s_cbranch_vccnz .LBB9_434
; %bb.426:
	s_cmp_lt_i32 s8, 6
	s_mov_b64 s[6:7], -1
	s_cbranch_scc1 .LBB9_432
; %bb.427:
	s_cmp_gt_i32 s8, 6
	s_cbranch_scc0 .LBB9_429
; %bb.428:
	s_mov_b64 s[6:7], 0
	global_store_dwordx2 v[4:5], v[0:1], off
.LBB9_429:
	s_andn2_b64 vcc, exec, s[6:7]
	s_cbranch_vccnz .LBB9_431
; %bb.430:
	v_cvt_f32_f64_e32 v2, v[0:1]
	global_store_dword v[4:5], v2, off
.LBB9_431:
	s_mov_b64 s[6:7], 0
.LBB9_432:
	s_andn2_b64 vcc, exec, s[6:7]
	s_cbranch_vccnz .LBB9_434
; %bb.433:
	s_movk_i32 s6, 0x1ff
	v_and_or_b32 v2, v1, s6, v0
	v_cmp_ne_u32_e32 vcc, 0, v2
	v_lshrrev_b32_e32 v3, 8, v1
	s_movk_i32 s6, 0xffe
	v_cndmask_b32_e64 v2, 0, 1, vcc
	v_bfe_u32 v6, v1, 20, 11
	v_and_or_b32 v2, v3, s6, v2
	v_sub_u32_e32 v7, 0x3f1, v6
	v_or_b32_e32 v3, 0x1000, v2
	v_med3_i32 v7, v7, 0, 13
	v_lshrrev_b32_e32 v8, v7, v3
	v_lshlrev_b32_e32 v7, v7, v8
	v_cmp_ne_u32_e32 vcc, v7, v3
	v_add_u32_e32 v6, 0xfffffc10, v6
	v_lshl_or_b32 v7, v6, 12, v2
	v_cndmask_b32_e64 v3, 0, 1, vcc
	v_or_b32_e32 v3, v8, v3
	v_cmp_gt_i32_e32 vcc, 1, v6
	s_movk_i32 s6, 0x40f
	s_nop 0
	v_cndmask_b32_e32 v3, v7, v3, vcc
	v_and_b32_e32 v7, 7, v3
	v_cmp_lt_i32_e32 vcc, 5, v7
	v_lshrrev_b32_e32 v3, 2, v3
	s_nop 0
	v_cndmask_b32_e64 v8, 0, 1, vcc
	v_cmp_eq_u32_e32 vcc, 3, v7
	s_nop 1
	v_cndmask_b32_e64 v7, 0, 1, vcc
	v_or_b32_e32 v7, v7, v8
	v_add_u32_e32 v3, v3, v7
	v_mov_b32_e32 v7, 0x7c00
	v_cmp_gt_i32_e32 vcc, 31, v6
	v_mov_b32_e32 v8, 0x7e00
	s_nop 0
	v_cndmask_b32_e32 v3, v7, v3, vcc
	v_cmp_ne_u32_e32 vcc, 0, v2
	s_nop 1
	v_cndmask_b32_e32 v2, v7, v8, vcc
	v_cmp_eq_u32_e32 vcc, s6, v6
	s_mov_b32 s6, 0x8000
	s_nop 0
	v_cndmask_b32_e32 v2, v3, v2, vcc
	v_lshrrev_b32_e32 v3, 16, v1
	v_and_or_b32 v2, v3, s6, v2
	global_store_short v[4:5], v2, off
.LBB9_434:
	s_mov_b64 s[6:7], 0
.LBB9_435:
	s_andn2_b64 vcc, exec, s[6:7]
	s_cbranch_vccnz .LBB9_451
; %bb.436:
	s_cmp_lt_i32 s8, 2
	s_mov_b64 s[6:7], -1
	s_cbranch_scc1 .LBB9_446
; %bb.437:
	s_cmp_lt_i32 s8, 3
	s_cbranch_scc1 .LBB9_443
; %bb.438:
	s_cmp_gt_i32 s8, 3
	s_cbranch_scc0 .LBB9_440
; %bb.439:
	v_trunc_f64_e32 v[2:3], v[0:1]
	s_movk_i32 s6, 0xffe0
	v_ldexp_f64 v[6:7], v[2:3], s6
	v_floor_f64_e32 v[6:7], v[6:7]
	v_fmac_f64_e32 v[2:3], 0xc1f00000, v[6:7]
	v_cvt_i32_f64_e32 v9, v[6:7]
	v_cvt_u32_f64_e32 v8, v[2:3]
	s_mov_b64 s[6:7], 0
	global_store_dwordx2 v[4:5], v[8:9], off
.LBB9_440:
	s_andn2_b64 vcc, exec, s[6:7]
	s_cbranch_vccnz .LBB9_442
; %bb.441:
	v_cvt_i32_f64_e32 v2, v[0:1]
	global_store_dword v[4:5], v2, off
.LBB9_442:
	s_mov_b64 s[6:7], 0
.LBB9_443:
	s_andn2_b64 vcc, exec, s[6:7]
	s_cbranch_vccnz .LBB9_445
; %bb.444:
	v_cvt_i32_f64_e32 v2, v[0:1]
	global_store_short v[4:5], v2, off
.LBB9_445:
	s_mov_b64 s[6:7], 0
.LBB9_446:
	s_andn2_b64 vcc, exec, s[6:7]
	s_cbranch_vccnz .LBB9_451
; %bb.447:
	s_cmp_gt_i32 s8, 0
	s_mov_b64 s[6:7], -1
	s_cbranch_scc0 .LBB9_449
; %bb.448:
	v_cvt_i32_f64_e32 v2, v[0:1]
	s_mov_b64 s[6:7], 0
	global_store_byte v[4:5], v2, off
.LBB9_449:
	s_andn2_b64 vcc, exec, s[6:7]
	s_cbranch_vccnz .LBB9_451
; %bb.450:
	v_trunc_f64_e32 v[0:1], v[0:1]
	s_movk_i32 s6, 0xffe0
	v_ldexp_f64 v[2:3], v[0:1], s6
	v_floor_f64_e32 v[2:3], v[2:3]
	v_fmac_f64_e32 v[0:1], 0xc1f00000, v[2:3]
	v_cvt_u32_f64_e32 v0, v[0:1]
	global_store_byte v[4:5], v0, off
.LBB9_451:
	s_mov_b64 s[6:7], -1
.LBB9_452:
	s_andn2_b64 vcc, exec, s[6:7]
	s_cbranch_vccnz .LBB9_454
; %bb.453:
	v_add_u32_e32 v10, 0x80, v10
	s_mov_b64 s[6:7], -1
	s_branch .LBB9_567
.LBB9_454:
	s_mov_b64 s[6:7], 0
	s_branch .LBB9_566
.LBB9_455:
	s_mov_b64 s[4:5], -1
                                        ; implicit-def: $vgpr4_vgpr5
.LBB9_456:
	s_mov_b64 s[6:7], 0
.LBB9_457:
	s_and_b64 vcc, exec, s[6:7]
	s_cbranch_vccz .LBB9_461
; %bb.458:
	s_cmp_eq_u32 s10, 29
	s_cbranch_scc0 .LBB9_460
; %bb.459:
	global_load_dwordx2 v[4:5], v[0:1], off
	s_mov_b64 s[2:3], -1
	s_mov_b64 s[4:5], 0
	s_mov_b64 s[6:7], 0
	s_waitcnt vmcnt(0)
	v_cvt_f64_u32_e32 v[6:7], v5
	v_cvt_f64_u32_e32 v[4:5], v4
	v_ldexp_f64 v[6:7], v[6:7], 32
	v_add_f64 v[4:5], v[6:7], v[4:5]
	s_branch .LBB9_462
.LBB9_460:
	s_mov_b64 s[4:5], -1
                                        ; implicit-def: $vgpr4_vgpr5
.LBB9_461:
	s_mov_b64 s[6:7], 0
.LBB9_462:
	s_and_b64 vcc, exec, s[6:7]
	s_cbranch_vccz .LBB9_482
; %bb.463:
	s_cmp_lt_i32 s10, 27
	s_cbranch_scc1 .LBB9_466
; %bb.464:
	s_cmp_gt_i32 s10, 27
	s_cbranch_scc0 .LBB9_467
; %bb.465:
	global_load_dword v3, v[0:1], off
	s_mov_b64 s[2:3], 0
	s_waitcnt vmcnt(0)
	v_cvt_f64_u32_e32 v[4:5], v3
	s_branch .LBB9_468
.LBB9_466:
	s_mov_b64 s[2:3], -1
                                        ; implicit-def: $vgpr4_vgpr5
	s_branch .LBB9_471
.LBB9_467:
	s_mov_b64 s[2:3], -1
                                        ; implicit-def: $vgpr4_vgpr5
.LBB9_468:
	s_andn2_b64 vcc, exec, s[2:3]
	s_cbranch_vccnz .LBB9_470
; %bb.469:
	global_load_ushort v3, v[0:1], off
	s_waitcnt vmcnt(0)
	v_cvt_f64_u32_e32 v[4:5], v3
.LBB9_470:
	s_mov_b64 s[2:3], 0
.LBB9_471:
	s_andn2_b64 vcc, exec, s[2:3]
	s_cbranch_vccnz .LBB9_481
; %bb.472:
	global_load_ubyte v3, v[0:1], off
	s_movk_i32 s2, 0x7f
	s_waitcnt vmcnt(0)
	v_cmp_lt_i16_e32 vcc, s2, v3
	s_mov_b64 s[2:3], 0
	s_and_saveexec_b64 s[6:7], vcc
	s_xor_b64 s[6:7], exec, s[6:7]
	s_cbranch_execz .LBB9_476
; %bb.473:
	s_movk_i32 s2, 0x80
	v_cmp_eq_u16_e32 vcc, s2, v3
	s_mov_b64 s[2:3], -1
	s_and_saveexec_b64 s[8:9], vcc
; %bb.474:
	s_xor_b64 s[2:3], exec, -1
; %bb.475:
	s_or_b64 exec, exec, s[8:9]
	s_and_b64 s[2:3], s[2:3], exec
.LBB9_476:
	s_or_saveexec_b64 s[6:7], s[6:7]
	v_bfrev_b32_e32 v4, 4
	v_mov_b32_e32 v5, 0x7ff80000
	s_xor_b64 exec, exec, s[6:7]
; %bb.477:
	v_cmp_ne_u16_e32 vcc, 0, v3
	s_andn2_b64 s[2:3], s[2:3], exec
	s_and_b64 s[8:9], vcc, exec
	v_mov_b64_e32 v[4:5], 0
	s_or_b64 s[2:3], s[2:3], s[8:9]
; %bb.478:
	s_or_b64 exec, exec, s[6:7]
	s_and_saveexec_b64 s[6:7], s[2:3]
	s_cbranch_execz .LBB9_480
; %bb.479:
	v_lshlrev_b32_e32 v4, 24, v3
	v_and_b32_e32 v3, 0xffff, v3
	v_and_b32_e32 v5, 7, v3
	v_ffbh_u32_e32 v7, v5
	v_min_u32_e32 v7, 32, v7
	v_subrev_u32_e32 v8, 28, v7
	v_bfe_u32 v6, v3, 3, 4
	v_lshlrev_b32_e32 v3, v8, v3
	v_sub_u32_e32 v7, 29, v7
	v_and_b32_e32 v3, 7, v3
	v_cmp_eq_u32_e32 vcc, 0, v6
	v_and_b32_e32 v4, 0x80000000, v4
	s_nop 0
	v_cndmask_b32_e32 v6, v6, v7, vcc
	v_cndmask_b32_e32 v3, v5, v3, vcc
	v_mov_b32_e32 v5, 0x3b800000
	v_lshlrev_b32_e32 v3, 20, v3
	v_lshl_add_u32 v5, v6, 23, v5
	v_or3_b32 v3, v4, v5, v3
	v_cvt_f64_f32_e32 v[4:5], v3
.LBB9_480:
	s_or_b64 exec, exec, s[6:7]
.LBB9_481:
	s_mov_b64 s[2:3], -1
.LBB9_482:
	s_mov_b64 s[6:7], 0
.LBB9_483:
	s_and_b64 vcc, exec, s[6:7]
	s_cbranch_vccz .LBB9_516
; %bb.484:
	s_cmp_gt_i32 s10, 22
	s_cbranch_scc0 .LBB9_496
; %bb.485:
	s_cmp_lt_i32 s10, 24
	s_cbranch_scc1 .LBB9_497
; %bb.486:
	s_cmp_gt_i32 s10, 24
	s_cbranch_scc0 .LBB9_498
; %bb.487:
	global_load_ubyte v3, v[0:1], off
	s_movk_i32 s2, 0x7f
	s_waitcnt vmcnt(0)
	v_cmp_lt_i16_e32 vcc, s2, v3
	s_mov_b64 s[2:3], 0
	s_and_saveexec_b64 s[6:7], vcc
	s_xor_b64 s[6:7], exec, s[6:7]
	s_cbranch_execz .LBB9_491
; %bb.488:
	s_movk_i32 s2, 0x80
	v_cmp_eq_u16_e32 vcc, s2, v3
	s_mov_b64 s[2:3], -1
	s_and_saveexec_b64 s[8:9], vcc
; %bb.489:
	s_xor_b64 s[2:3], exec, -1
; %bb.490:
	s_or_b64 exec, exec, s[8:9]
	s_and_b64 s[2:3], s[2:3], exec
.LBB9_491:
	s_or_saveexec_b64 s[6:7], s[6:7]
	v_bfrev_b32_e32 v4, 4
	v_mov_b32_e32 v5, 0x7ff80000
	s_xor_b64 exec, exec, s[6:7]
; %bb.492:
	v_cmp_ne_u16_e32 vcc, 0, v3
	s_andn2_b64 s[2:3], s[2:3], exec
	s_and_b64 s[8:9], vcc, exec
	v_mov_b64_e32 v[4:5], 0
	s_or_b64 s[2:3], s[2:3], s[8:9]
; %bb.493:
	s_or_b64 exec, exec, s[6:7]
	s_and_saveexec_b64 s[6:7], s[2:3]
	s_cbranch_execz .LBB9_495
; %bb.494:
	v_lshlrev_b32_e32 v4, 24, v3
	v_and_b32_e32 v3, 0xffff, v3
	v_and_b32_e32 v5, 3, v3
	v_ffbh_u32_e32 v7, v5
	v_min_u32_e32 v7, 32, v7
	v_subrev_u32_e32 v8, 29, v7
	v_bfe_u32 v6, v3, 2, 5
	v_lshlrev_b32_e32 v3, v8, v3
	v_sub_u32_e32 v7, 30, v7
	v_and_b32_e32 v3, 3, v3
	v_cmp_eq_u32_e32 vcc, 0, v6
	v_and_b32_e32 v4, 0x80000000, v4
	s_nop 0
	v_cndmask_b32_e32 v6, v6, v7, vcc
	v_cndmask_b32_e32 v3, v5, v3, vcc
	v_mov_b32_e32 v5, 0x37800000
	v_lshlrev_b32_e32 v3, 21, v3
	v_lshl_add_u32 v5, v6, 23, v5
	v_or3_b32 v3, v4, v5, v3
	v_cvt_f64_f32_e32 v[4:5], v3
.LBB9_495:
	s_or_b64 exec, exec, s[6:7]
	s_mov_b64 s[2:3], 0
	s_branch .LBB9_499
.LBB9_496:
	s_mov_b64 s[6:7], -1
                                        ; implicit-def: $vgpr4_vgpr5
	s_branch .LBB9_505
.LBB9_497:
	s_mov_b64 s[2:3], -1
                                        ; implicit-def: $vgpr4_vgpr5
	s_branch .LBB9_502
.LBB9_498:
	s_mov_b64 s[2:3], -1
                                        ; implicit-def: $vgpr4_vgpr5
.LBB9_499:
	s_and_b64 vcc, exec, s[2:3]
	s_cbranch_vccz .LBB9_501
; %bb.500:
	global_load_ubyte v3, v[0:1], off
	s_mov_b32 s2, 0x7f800000
	s_waitcnt vmcnt(0)
	v_lshlrev_b32_e32 v3, 24, v3
	v_and_b32_e32 v4, 0x7f000000, v3
	v_ffbh_u32_e32 v5, v4
	v_min_u32_e32 v5, 32, v5
	v_sub_u32_e64 v5, v5, 4 clamp
	v_lshlrev_b32_e32 v7, v5, v4
	v_lshlrev_b32_e32 v5, 23, v5
	v_lshrrev_b32_e32 v7, 4, v7
	v_add_u32_e32 v6, 0x1000000, v4
	v_sub_u32_e32 v5, v7, v5
	v_ashrrev_i32_e32 v6, 8, v6
	v_add_u32_e32 v5, 0x3c000000, v5
	v_and_or_b32 v5, v6, s2, v5
	v_cmp_ne_u32_e32 vcc, 0, v4
	s_brev_b32 s2, 1
	s_nop 0
	v_cndmask_b32_e32 v4, 0, v5, vcc
	v_and_or_b32 v3, v3, s2, v4
	v_cvt_f64_f32_e32 v[4:5], v3
.LBB9_501:
	s_mov_b64 s[2:3], 0
.LBB9_502:
	s_andn2_b64 vcc, exec, s[2:3]
	s_cbranch_vccnz .LBB9_504
; %bb.503:
	global_load_ubyte v3, v[0:1], off
	s_movk_i32 s2, 0x7f00
	s_brev_b32 s3, 16
	s_waitcnt vmcnt(0)
	v_lshlrev_b16_e32 v4, 8, v3
	v_lshlrev_b32_e32 v3, 25, v3
	v_lshrrev_b32_e32 v5, 4, v3
	v_and_or_b32 v6, v4, s2, 0.5
	v_or_b32_e32 v5, 0x70000000, v5
	v_add_f32_e32 v6, -0.5, v6
	v_mul_f32_e32 v5, 0x7800000, v5
	v_cmp_gt_u32_e32 vcc, s3, v3
	v_bfe_i32 v4, v4, 0, 16
	s_brev_b32 s2, 1
	v_cndmask_b32_e32 v3, v5, v6, vcc
	v_and_or_b32 v3, v4, s2, v3
	v_cvt_f64_f32_e32 v[4:5], v3
.LBB9_504:
	s_mov_b64 s[6:7], 0
	s_mov_b64 s[2:3], -1
.LBB9_505:
	s_andn2_b64 vcc, exec, s[6:7]
	s_cbranch_vccnz .LBB9_516
; %bb.506:
	s_cmp_gt_i32 s10, 14
	s_cbranch_scc0 .LBB9_509
; %bb.507:
	s_cmp_eq_u32 s10, 15
	s_cbranch_scc0 .LBB9_510
; %bb.508:
	global_load_ushort v3, v[0:1], off
	s_mov_b64 s[2:3], -1
	s_mov_b64 s[4:5], 0
	s_waitcnt vmcnt(0)
	v_lshlrev_b32_e32 v3, 16, v3
	v_cvt_f64_f32_e32 v[4:5], v3
	s_branch .LBB9_511
.LBB9_509:
	s_mov_b64 s[6:7], -1
                                        ; implicit-def: $vgpr4_vgpr5
	s_branch .LBB9_512
.LBB9_510:
	s_mov_b64 s[4:5], -1
                                        ; implicit-def: $vgpr4_vgpr5
.LBB9_511:
	s_mov_b64 s[6:7], 0
.LBB9_512:
	s_and_b64 vcc, exec, s[6:7]
	s_cbranch_vccz .LBB9_516
; %bb.513:
	s_cmp_eq_u32 s10, 11
	s_cbranch_scc0 .LBB9_515
; %bb.514:
	global_load_ubyte v3, v[0:1], off
	s_waitcnt vmcnt(1)
	v_mov_b32_e32 v5, 0x3ff00000
	v_mov_b32_e32 v4, 0
	s_mov_b64 s[2:3], -1
	s_mov_b64 s[4:5], 0
	s_waitcnt vmcnt(0)
	v_cmp_ne_u16_e32 vcc, 0, v3
	s_nop 1
	v_cndmask_b32_e32 v5, 0, v5, vcc
	s_branch .LBB9_516
.LBB9_515:
	s_mov_b64 s[4:5], -1
                                        ; implicit-def: $vgpr4_vgpr5
.LBB9_516:
	s_branch .LBB9_307
.LBB9_517:
	s_cmp_lt_i32 s10, 5
	s_cbranch_scc1 .LBB9_522
; %bb.518:
	s_cmp_lt_i32 s10, 8
	s_cbranch_scc1 .LBB9_523
; %bb.519:
	;; [unrolled: 3-line block ×3, first 2 shown]
	s_cmp_gt_i32 s10, 9
	s_cbranch_scc0 .LBB9_525
; %bb.521:
	global_load_dwordx2 v[4:5], v[0:1], off
	s_mov_b64 s[2:3], 0
	s_branch .LBB9_526
.LBB9_522:
	s_mov_b64 s[2:3], -1
                                        ; implicit-def: $vgpr4_vgpr5
	s_branch .LBB9_544
.LBB9_523:
	s_mov_b64 s[2:3], -1
                                        ; implicit-def: $vgpr4_vgpr5
	s_branch .LBB9_532
.LBB9_524:
	s_mov_b64 s[2:3], -1
                                        ; implicit-def: $vgpr4_vgpr5
	s_branch .LBB9_529
.LBB9_525:
	s_mov_b64 s[2:3], -1
                                        ; implicit-def: $vgpr4_vgpr5
.LBB9_526:
	s_andn2_b64 vcc, exec, s[2:3]
	s_cbranch_vccnz .LBB9_528
; %bb.527:
	global_load_dword v3, v[0:1], off
	s_waitcnt vmcnt(0)
	v_cvt_f64_f32_e32 v[4:5], v3
.LBB9_528:
	s_mov_b64 s[2:3], 0
.LBB9_529:
	s_andn2_b64 vcc, exec, s[2:3]
	s_cbranch_vccnz .LBB9_531
; %bb.530:
	global_load_dword v3, v[0:1], off
	s_waitcnt vmcnt(0)
	v_cvt_f32_f16_e32 v3, v3
	v_cvt_f64_f32_e32 v[4:5], v3
.LBB9_531:
	s_mov_b64 s[2:3], 0
.LBB9_532:
	s_andn2_b64 vcc, exec, s[2:3]
	s_cbranch_vccnz .LBB9_543
; %bb.533:
	s_cmp_lt_i32 s10, 6
	s_cbranch_scc1 .LBB9_536
; %bb.534:
	s_cmp_gt_i32 s10, 6
	s_cbranch_scc0 .LBB9_537
; %bb.535:
	global_load_dwordx2 v[4:5], v[0:1], off
	s_mov_b64 s[2:3], 0
	s_branch .LBB9_538
.LBB9_536:
	s_mov_b64 s[2:3], -1
                                        ; implicit-def: $vgpr4_vgpr5
	s_branch .LBB9_541
.LBB9_537:
	s_mov_b64 s[2:3], -1
                                        ; implicit-def: $vgpr4_vgpr5
.LBB9_538:
	s_andn2_b64 vcc, exec, s[2:3]
	s_cbranch_vccnz .LBB9_540
; %bb.539:
	global_load_dword v3, v[0:1], off
	s_waitcnt vmcnt(0)
	v_cvt_f64_f32_e32 v[4:5], v3
.LBB9_540:
	s_mov_b64 s[2:3], 0
.LBB9_541:
	s_andn2_b64 vcc, exec, s[2:3]
	s_cbranch_vccnz .LBB9_543
; %bb.542:
	global_load_ushort v3, v[0:1], off
	s_waitcnt vmcnt(0)
	v_cvt_f32_f16_e32 v3, v3
	v_cvt_f64_f32_e32 v[4:5], v3
.LBB9_543:
	s_mov_b64 s[2:3], 0
.LBB9_544:
	s_andn2_b64 vcc, exec, s[2:3]
	s_cbranch_vccnz .LBB9_564
; %bb.545:
	s_cmp_lt_i32 s10, 2
	s_cbranch_scc1 .LBB9_549
; %bb.546:
	s_cmp_lt_i32 s10, 3
	s_cbranch_scc1 .LBB9_550
; %bb.547:
	s_cmp_gt_i32 s10, 3
	s_cbranch_scc0 .LBB9_551
; %bb.548:
	global_load_dwordx2 v[4:5], v[0:1], off
	s_mov_b64 s[2:3], 0
	s_waitcnt vmcnt(0)
	v_cvt_f64_i32_e32 v[6:7], v5
	v_cvt_f64_u32_e32 v[4:5], v4
	v_ldexp_f64 v[6:7], v[6:7], 32
	v_add_f64 v[4:5], v[6:7], v[4:5]
	s_branch .LBB9_552
.LBB9_549:
	s_mov_b64 s[2:3], -1
                                        ; implicit-def: $vgpr4_vgpr5
	s_branch .LBB9_558
.LBB9_550:
	s_mov_b64 s[2:3], -1
                                        ; implicit-def: $vgpr4_vgpr5
	s_branch .LBB9_555
.LBB9_551:
	s_mov_b64 s[2:3], -1
                                        ; implicit-def: $vgpr4_vgpr5
.LBB9_552:
	s_andn2_b64 vcc, exec, s[2:3]
	s_cbranch_vccnz .LBB9_554
; %bb.553:
	global_load_dword v3, v[0:1], off
	s_waitcnt vmcnt(0)
	v_cvt_f64_i32_e32 v[4:5], v3
.LBB9_554:
	s_mov_b64 s[2:3], 0
.LBB9_555:
	s_andn2_b64 vcc, exec, s[2:3]
	s_cbranch_vccnz .LBB9_557
; %bb.556:
	global_load_sshort v3, v[0:1], off
	s_waitcnt vmcnt(0)
	v_cvt_f64_i32_e32 v[4:5], v3
.LBB9_557:
	s_mov_b64 s[2:3], 0
.LBB9_558:
	s_andn2_b64 vcc, exec, s[2:3]
	s_cbranch_vccnz .LBB9_564
; %bb.559:
	s_cmp_gt_i32 s10, 0
	s_cbranch_scc0 .LBB9_561
; %bb.560:
	global_load_sbyte v3, v[0:1], off
	s_mov_b64 s[2:3], 0
	s_waitcnt vmcnt(0)
	v_cvt_f64_i32_e32 v[4:5], v3
	s_branch .LBB9_562
.LBB9_561:
	s_mov_b64 s[2:3], -1
                                        ; implicit-def: $vgpr4_vgpr5
.LBB9_562:
	s_andn2_b64 vcc, exec, s[2:3]
	s_cbranch_vccnz .LBB9_564
; %bb.563:
	global_load_ubyte v0, v[0:1], off
	s_waitcnt vmcnt(0)
	v_cvt_f64_u32_e32 v[4:5], v0
.LBB9_564:
	s_branch .LBB9_308
.LBB9_565:
	s_mov_b64 s[6:7], 0
	s_mov_b64 s[2:3], s[54:55]
.LBB9_566:
                                        ; implicit-def: $vgpr10
.LBB9_567:
	s_andn2_b64 s[8:9], s[54:55], exec
	s_and_b64 s[2:3], s[2:3], exec
	s_or_b64 s[62:63], s[8:9], s[2:3]
	s_andn2_b64 s[2:3], s[56:57], exec
	s_and_b64 s[4:5], s[4:5], exec
	s_or_b64 s[60:61], s[2:3], s[4:5]
	s_orn2_b64 s[2:3], s[6:7], exec
.LBB9_568:
	s_or_b64 exec, exec, s[64:65]
	s_mov_b64 s[4:5], 0
	s_mov_b64 s[6:7], 0
	;; [unrolled: 1-line block ×3, first 2 shown]
                                        ; implicit-def: $vgpr0_vgpr1
                                        ; implicit-def: $vgpr2
                                        ; implicit-def: $vgpr4_vgpr5
	s_and_saveexec_b64 s[64:65], s[2:3]
	s_cbranch_execz .LBB9_957
; %bb.569:
	v_cmp_gt_i32_e32 vcc, s70, v10
	s_mov_b64 s[6:7], -1
	s_mov_b64 s[2:3], s[60:61]
	s_mov_b64 s[68:69], s[62:63]
	s_and_saveexec_b64 s[66:67], vcc
	s_cbranch_execz .LBB9_856
; %bb.570:
	s_andn2_b64 vcc, exec, s[42:43]
	s_cbranch_vccnz .LBB9_576
; %bb.571:
	s_andn2_b64 vcc, exec, s[52:53]
	s_cbranch_vccnz .LBB9_577
; %bb.572:
	s_add_i32 s76, s75, 1
	s_cmp_eq_u32 s72, 2
	s_cbranch_scc1 .LBB9_578
; %bb.573:
	s_and_b32 s71, s76, 28
	s_mov_b32 s77, 0
	v_mov_b32_e32 v2, 0
	v_mov_b32_e32 v0, 0
	s_mov_b64 s[2:3], s[34:35]
	s_mov_b64 s[68:69], s[50:51]
	s_waitcnt vmcnt(0)
	v_mov_b32_e32 v4, v10
.LBB9_574:                              ; =>This Inner Loop Header: Depth=1
	s_load_dwordx8 s[12:19], s[2:3], 0x4
	s_load_dwordx4 s[36:39], s[2:3], 0x24
	s_load_dwordx8 s[4:11], s[68:69], 0x0
	s_add_u32 s2, s2, 48
	s_addc_u32 s3, s3, 0
	s_waitcnt lgkmcnt(0)
	v_mul_hi_u32 v1, s13, v4
	v_add_u32_e32 v1, v4, v1
	v_lshrrev_b32_e32 v1, s14, v1
	v_mul_lo_u32 v3, v1, s12
	v_mul_hi_u32 v5, s16, v1
	v_sub_u32_e32 v3, v4, v3
	v_add_u32_e32 v4, v1, v5
	v_lshrrev_b32_e32 v4, s17, v4
	v_mul_lo_u32 v6, v4, s15
	v_mul_hi_u32 v7, s19, v4
	v_sub_u32_e32 v1, v1, v6
	v_add_u32_e32 v6, v4, v7
	v_mul_lo_u32 v5, v3, s5
	v_mul_lo_u32 v3, v3, s4
	;; [unrolled: 1-line block ×4, first 2 shown]
	v_lshrrev_b32_e32 v6, s36, v6
	v_add3_u32 v1, v3, v2, v1
	v_mul_hi_u32 v3, s38, v6
	v_mul_lo_u32 v2, v6, s18
	v_add_u32_e32 v3, v6, v3
	v_sub_u32_e32 v2, v4, v2
	v_lshrrev_b32_e32 v4, s39, v3
	s_add_i32 s77, s77, 4
	v_mul_lo_u32 v3, v4, s37
	s_add_u32 s68, s68, 32
	v_sub_u32_e32 v3, v6, v3
	s_addc_u32 s69, s69, 0
	v_add3_u32 v0, v5, v0, v7
	v_mul_lo_u32 v5, v2, s8
	v_mul_lo_u32 v2, v2, s9
	;; [unrolled: 1-line block ×4, first 2 shown]
	s_cmp_eq_u32 s71, s77
	v_add3_u32 v0, v2, v0, v3
	v_add3_u32 v2, v5, v1, v6
	s_cbranch_scc0 .LBB9_574
; %bb.575:
	v_mov_b32_e32 v1, v0
	s_branch .LBB9_579
.LBB9_576:
	s_mov_b64 s[2:3], -1
                                        ; implicit-def: $vgpr0
                                        ; implicit-def: $vgpr2
	s_branch .LBB9_583
.LBB9_577:
	v_mov_b32_e32 v0, 0
	v_mov_b32_e32 v2, 0
	s_branch .LBB9_582
.LBB9_578:
	v_mov_b32_e32 v2, 0
	s_mov_b32 s71, 0
	v_mov_b32_e32 v1, v2
                                        ; implicit-def: $vgpr0
	s_waitcnt vmcnt(0)
	v_mov_b32_e32 v4, v10
.LBB9_579:
	s_and_b32 s6, s76, 3
	s_cmp_eq_u32 s6, 0
	s_cbranch_scc1 .LBB9_582
; %bb.580:
	s_lshl_b32 s2, s71, 3
	s_add_u32 s2, s34, s2
	s_addc_u32 s3, s35, 0
	s_add_u32 s2, s2, 0xc4
	s_addc_u32 s3, s3, 0
	s_mul_i32 s4, s71, 12
	s_add_u32 s4, s34, s4
	s_addc_u32 s5, s35, 0
.LBB9_581:                              ; =>This Inner Loop Header: Depth=1
	s_load_dwordx2 s[8:9], s[4:5], 0x4
	s_load_dword s7, s[4:5], 0xc
	s_load_dwordx2 s[10:11], s[2:3], 0x0
	v_mov_b32_e32 v0, v1
	s_add_u32 s4, s4, 12
	s_waitcnt lgkmcnt(0)
	v_mul_hi_u32 v1, s9, v4
	v_add_u32_e32 v1, v4, v1
	v_lshrrev_b32_e32 v1, s7, v1
	s_addc_u32 s5, s5, 0
	v_mul_lo_u32 v3, v1, s8
	s_add_u32 s2, s2, 8
	v_sub_u32_e32 v3, v4, v3
	s_addc_u32 s3, s3, 0
	s_add_i32 s6, s6, -1
	v_mov_b32_e32 v4, v1
	v_mad_u64_u32 v[0:1], s[8:9], v3, s11, v[0:1]
	s_cmp_lg_u32 s6, 0
	v_mad_u64_u32 v[2:3], s[8:9], v3, s10, v[2:3]
	v_mov_b32_e32 v1, v0
	s_cbranch_scc1 .LBB9_581
.LBB9_582:
	s_mov_b64 s[2:3], 0
.LBB9_583:
	s_andn2_b64 vcc, exec, s[2:3]
	s_cbranch_vccnz .LBB9_586
; %bb.584:
	s_waitcnt lgkmcnt(0)
	v_mul_hi_u32 v0, s29, v10
	v_add_u32_e32 v0, v10, v0
	v_lshrrev_b32_e32 v1, s30, v0
	v_mul_lo_u32 v0, v1, s28
	v_sub_u32_e32 v2, v10, v0
	v_mul_lo_u32 v0, v2, s25
	s_andn2_b64 vcc, exec, s[48:49]
	v_mul_lo_u32 v2, v2, s24
	s_cbranch_vccnz .LBB9_586
; %bb.585:
	v_mul_hi_u32 v3, s46, v1
	v_add_u32_e32 v3, v1, v3
	v_lshrrev_b32_e32 v3, s47, v3
	v_mul_lo_u32 v3, v3, s31
	v_sub_u32_e32 v1, v1, v3
	v_mad_u64_u32 v[2:3], s[2:3], v1, s26, v[2:3]
	v_mad_u64_u32 v[0:1], s[2:3], v1, s27, v[0:1]
.LBB9_586:
	v_mov_b32_e32 v1, 0
	s_and_b32 s10, 0xffff, s74
	s_cmp_lt_i32 s10, 11
	s_waitcnt lgkmcnt(0)
	v_lshl_add_u64 v[0:1], s[22:23], 0, v[0:1]
	s_cbranch_scc1 .LBB9_593
; %bb.587:
	s_cmp_gt_i32 s10, 25
	s_cbranch_scc0 .LBB9_594
; %bb.588:
	s_cmp_gt_i32 s10, 28
	s_cbranch_scc0 .LBB9_595
	;; [unrolled: 3-line block ×4, first 2 shown]
; %bb.591:
	s_cmp_eq_u32 s10, 46
	s_mov_b64 s[6:7], 0
	s_cbranch_scc0 .LBB9_602
; %bb.592:
	global_load_dword v3, v[0:1], off
	s_mov_b64 s[2:3], -1
	s_mov_b64 s[4:5], 0
	s_waitcnt vmcnt(0)
	v_lshlrev_b32_e32 v3, 16, v3
	v_cvt_f64_f32_e32 v[4:5], v3
	s_branch .LBB9_603
.LBB9_593:
	s_mov_b64 s[6:7], -1
	s_mov_b64 s[2:3], 0
                                        ; implicit-def: $vgpr4_vgpr5
	s_mov_b64 s[4:5], s[60:61]
	s_branch .LBB9_668
.LBB9_594:
	s_mov_b64 s[6:7], -1
	s_mov_b64 s[2:3], 0
	s_mov_b64 s[4:5], s[60:61]
                                        ; implicit-def: $vgpr4_vgpr5
	s_branch .LBB9_634
.LBB9_595:
	s_mov_b64 s[6:7], -1
	s_mov_b64 s[2:3], 0
	s_mov_b64 s[4:5], s[60:61]
                                        ; implicit-def: $vgpr4_vgpr5
	s_branch .LBB9_613
.LBB9_596:
	s_mov_b64 s[6:7], -1
	s_mov_b64 s[2:3], 0
	s_mov_b64 s[4:5], s[60:61]
                                        ; implicit-def: $vgpr4_vgpr5
	s_branch .LBB9_608
.LBB9_597:
	s_andn2_saveexec_b64 s[10:11], s[10:11]
	s_cbranch_execz .LBB9_365
.LBB9_598:
	s_mov_b32 s14, 0x46000000
	v_add_f32_e64 v3, |v2|, s14
	v_and_b32_e32 v3, 0xff, v3
	v_cmp_ne_u32_e32 vcc, 0, v3
	s_andn2_b64 s[8:9], s[8:9], exec
	s_and_b64 s[14:15], vcc, exec
	s_or_b64 s[8:9], s[8:9], s[14:15]
	s_or_b64 exec, exec, s[10:11]
	v_mov_b32_e32 v6, 0
	s_and_saveexec_b64 s[10:11], s[8:9]
	s_cbranch_execnz .LBB9_366
	s_branch .LBB9_367
.LBB9_599:
	s_mov_b64 s[6:7], -1
	s_mov_b64 s[2:3], 0
	s_mov_b64 s[4:5], s[60:61]
                                        ; implicit-def: $vgpr4_vgpr5
	s_branch .LBB9_603
.LBB9_600:
	s_andn2_saveexec_b64 s[10:11], s[10:11]
	s_cbranch_execz .LBB9_378
.LBB9_601:
	s_mov_b32 s14, 0x42800000
	v_add_f32_e64 v3, |v2|, s14
	v_and_b32_e32 v3, 0xff, v3
	v_cmp_ne_u32_e32 vcc, 0, v3
	s_andn2_b64 s[8:9], s[8:9], exec
	s_and_b64 s[14:15], vcc, exec
	s_or_b64 s[8:9], s[8:9], s[14:15]
	s_or_b64 exec, exec, s[10:11]
	v_mov_b32_e32 v6, 0
	s_and_saveexec_b64 s[10:11], s[8:9]
	s_cbranch_execnz .LBB9_379
	s_branch .LBB9_380
.LBB9_602:
	s_mov_b64 s[4:5], -1
                                        ; implicit-def: $vgpr4_vgpr5
	s_mov_b64 s[2:3], 0
.LBB9_603:
	s_and_b64 vcc, exec, s[6:7]
	s_cbranch_vccz .LBB9_607
; %bb.604:
	s_cmp_eq_u32 s10, 44
	s_cbranch_scc0 .LBB9_606
; %bb.605:
	global_load_ubyte v3, v[0:1], off
	s_movk_i32 s4, 0xff
	v_bfrev_b32_e32 v6, 4
	v_mov_b32_e32 v7, 0x7ff80000
	v_bfrev_b32_e32 v8, 28
	s_mov_b64 s[2:3], -1
	s_waitcnt vmcnt(0)
	v_lshlrev_b32_e32 v4, 23, v3
	v_cvt_f64_f32_e32 v[4:5], v4
	v_cmp_ne_u32_e32 vcc, s4, v3
	s_mov_b64 s[4:5], 0
	s_nop 0
	v_cndmask_b32_e32 v4, v6, v4, vcc
	v_cndmask_b32_e32 v5, v7, v5, vcc
	v_cmp_ne_u32_e32 vcc, 0, v3
	s_nop 1
	v_cndmask_b32_e32 v5, v8, v5, vcc
	v_cndmask_b32_e32 v4, 0, v4, vcc
	s_branch .LBB9_607
.LBB9_606:
	s_mov_b64 s[4:5], -1
                                        ; implicit-def: $vgpr4_vgpr5
.LBB9_607:
	s_mov_b64 s[6:7], 0
.LBB9_608:
	s_and_b64 vcc, exec, s[6:7]
	s_cbranch_vccz .LBB9_612
; %bb.609:
	s_cmp_eq_u32 s10, 29
	s_cbranch_scc0 .LBB9_611
; %bb.610:
	global_load_dwordx2 v[4:5], v[0:1], off
	s_mov_b64 s[2:3], -1
	s_mov_b64 s[4:5], 0
	s_mov_b64 s[6:7], 0
	s_waitcnt vmcnt(0)
	v_cvt_f64_u32_e32 v[6:7], v5
	v_cvt_f64_u32_e32 v[4:5], v4
	v_ldexp_f64 v[6:7], v[6:7], 32
	v_add_f64 v[4:5], v[6:7], v[4:5]
	s_branch .LBB9_613
.LBB9_611:
	s_mov_b64 s[4:5], -1
                                        ; implicit-def: $vgpr4_vgpr5
.LBB9_612:
	s_mov_b64 s[6:7], 0
.LBB9_613:
	s_and_b64 vcc, exec, s[6:7]
	s_cbranch_vccz .LBB9_633
; %bb.614:
	s_cmp_lt_i32 s10, 27
	s_cbranch_scc1 .LBB9_617
; %bb.615:
	s_cmp_gt_i32 s10, 27
	s_cbranch_scc0 .LBB9_618
; %bb.616:
	global_load_dword v3, v[0:1], off
	s_mov_b64 s[2:3], 0
	s_waitcnt vmcnt(0)
	v_cvt_f64_u32_e32 v[4:5], v3
	s_branch .LBB9_619
.LBB9_617:
	s_mov_b64 s[2:3], -1
                                        ; implicit-def: $vgpr4_vgpr5
	s_branch .LBB9_622
.LBB9_618:
	s_mov_b64 s[2:3], -1
                                        ; implicit-def: $vgpr4_vgpr5
.LBB9_619:
	s_andn2_b64 vcc, exec, s[2:3]
	s_cbranch_vccnz .LBB9_621
; %bb.620:
	global_load_ushort v3, v[0:1], off
	s_waitcnt vmcnt(0)
	v_cvt_f64_u32_e32 v[4:5], v3
.LBB9_621:
	s_mov_b64 s[2:3], 0
.LBB9_622:
	s_andn2_b64 vcc, exec, s[2:3]
	s_cbranch_vccnz .LBB9_632
; %bb.623:
	global_load_ubyte v3, v[0:1], off
	s_movk_i32 s2, 0x7f
	s_waitcnt vmcnt(0)
	v_cmp_lt_i16_e32 vcc, s2, v3
	s_mov_b64 s[2:3], 0
	s_and_saveexec_b64 s[6:7], vcc
	s_xor_b64 s[6:7], exec, s[6:7]
	s_cbranch_execz .LBB9_627
; %bb.624:
	s_movk_i32 s2, 0x80
	v_cmp_eq_u16_e32 vcc, s2, v3
	s_mov_b64 s[2:3], -1
	s_and_saveexec_b64 s[8:9], vcc
; %bb.625:
	s_xor_b64 s[2:3], exec, -1
; %bb.626:
	s_or_b64 exec, exec, s[8:9]
	s_and_b64 s[2:3], s[2:3], exec
.LBB9_627:
	s_or_saveexec_b64 s[6:7], s[6:7]
	v_bfrev_b32_e32 v4, 4
	v_mov_b32_e32 v5, 0x7ff80000
	s_xor_b64 exec, exec, s[6:7]
; %bb.628:
	v_cmp_ne_u16_e32 vcc, 0, v3
	s_andn2_b64 s[2:3], s[2:3], exec
	s_and_b64 s[8:9], vcc, exec
	v_mov_b64_e32 v[4:5], 0
	s_or_b64 s[2:3], s[2:3], s[8:9]
; %bb.629:
	s_or_b64 exec, exec, s[6:7]
	s_and_saveexec_b64 s[6:7], s[2:3]
	s_cbranch_execz .LBB9_631
; %bb.630:
	v_lshlrev_b32_e32 v4, 24, v3
	v_and_b32_e32 v3, 0xffff, v3
	v_and_b32_e32 v5, 7, v3
	v_ffbh_u32_e32 v7, v5
	v_min_u32_e32 v7, 32, v7
	v_subrev_u32_e32 v8, 28, v7
	v_bfe_u32 v6, v3, 3, 4
	v_lshlrev_b32_e32 v3, v8, v3
	v_sub_u32_e32 v7, 29, v7
	v_and_b32_e32 v3, 7, v3
	v_cmp_eq_u32_e32 vcc, 0, v6
	v_and_b32_e32 v4, 0x80000000, v4
	s_nop 0
	v_cndmask_b32_e32 v6, v6, v7, vcc
	v_cndmask_b32_e32 v3, v5, v3, vcc
	v_mov_b32_e32 v5, 0x3b800000
	v_lshlrev_b32_e32 v3, 20, v3
	v_lshl_add_u32 v5, v6, 23, v5
	v_or3_b32 v3, v4, v5, v3
	v_cvt_f64_f32_e32 v[4:5], v3
.LBB9_631:
	s_or_b64 exec, exec, s[6:7]
.LBB9_632:
	s_mov_b64 s[2:3], -1
.LBB9_633:
	s_mov_b64 s[6:7], 0
.LBB9_634:
	s_and_b64 vcc, exec, s[6:7]
	s_cbranch_vccz .LBB9_667
; %bb.635:
	s_cmp_gt_i32 s10, 22
	s_cbranch_scc0 .LBB9_647
; %bb.636:
	s_cmp_lt_i32 s10, 24
	s_cbranch_scc1 .LBB9_648
; %bb.637:
	s_cmp_gt_i32 s10, 24
	s_cbranch_scc0 .LBB9_649
; %bb.638:
	global_load_ubyte v3, v[0:1], off
	s_movk_i32 s2, 0x7f
	s_waitcnt vmcnt(0)
	v_cmp_lt_i16_e32 vcc, s2, v3
	s_mov_b64 s[2:3], 0
	s_and_saveexec_b64 s[6:7], vcc
	s_xor_b64 s[6:7], exec, s[6:7]
	s_cbranch_execz .LBB9_642
; %bb.639:
	s_movk_i32 s2, 0x80
	v_cmp_eq_u16_e32 vcc, s2, v3
	s_mov_b64 s[2:3], -1
	s_and_saveexec_b64 s[8:9], vcc
; %bb.640:
	s_xor_b64 s[2:3], exec, -1
; %bb.641:
	s_or_b64 exec, exec, s[8:9]
	s_and_b64 s[2:3], s[2:3], exec
.LBB9_642:
	s_or_saveexec_b64 s[6:7], s[6:7]
	v_bfrev_b32_e32 v4, 4
	v_mov_b32_e32 v5, 0x7ff80000
	s_xor_b64 exec, exec, s[6:7]
; %bb.643:
	v_cmp_ne_u16_e32 vcc, 0, v3
	s_andn2_b64 s[2:3], s[2:3], exec
	s_and_b64 s[8:9], vcc, exec
	v_mov_b64_e32 v[4:5], 0
	s_or_b64 s[2:3], s[2:3], s[8:9]
; %bb.644:
	s_or_b64 exec, exec, s[6:7]
	s_and_saveexec_b64 s[6:7], s[2:3]
	s_cbranch_execz .LBB9_646
; %bb.645:
	v_lshlrev_b32_e32 v4, 24, v3
	v_and_b32_e32 v3, 0xffff, v3
	v_and_b32_e32 v5, 3, v3
	v_ffbh_u32_e32 v7, v5
	v_min_u32_e32 v7, 32, v7
	v_subrev_u32_e32 v8, 29, v7
	v_bfe_u32 v6, v3, 2, 5
	v_lshlrev_b32_e32 v3, v8, v3
	v_sub_u32_e32 v7, 30, v7
	v_and_b32_e32 v3, 3, v3
	v_cmp_eq_u32_e32 vcc, 0, v6
	v_and_b32_e32 v4, 0x80000000, v4
	s_nop 0
	v_cndmask_b32_e32 v6, v6, v7, vcc
	v_cndmask_b32_e32 v3, v5, v3, vcc
	v_mov_b32_e32 v5, 0x37800000
	v_lshlrev_b32_e32 v3, 21, v3
	v_lshl_add_u32 v5, v6, 23, v5
	v_or3_b32 v3, v4, v5, v3
	v_cvt_f64_f32_e32 v[4:5], v3
.LBB9_646:
	s_or_b64 exec, exec, s[6:7]
	s_mov_b64 s[2:3], 0
	s_branch .LBB9_650
.LBB9_647:
	s_mov_b64 s[6:7], -1
                                        ; implicit-def: $vgpr4_vgpr5
	s_branch .LBB9_656
.LBB9_648:
	s_mov_b64 s[2:3], -1
                                        ; implicit-def: $vgpr4_vgpr5
	s_branch .LBB9_653
.LBB9_649:
	s_mov_b64 s[2:3], -1
                                        ; implicit-def: $vgpr4_vgpr5
.LBB9_650:
	s_and_b64 vcc, exec, s[2:3]
	s_cbranch_vccz .LBB9_652
; %bb.651:
	global_load_ubyte v3, v[0:1], off
	s_mov_b32 s2, 0x7f800000
	s_waitcnt vmcnt(0)
	v_lshlrev_b32_e32 v3, 24, v3
	v_and_b32_e32 v4, 0x7f000000, v3
	v_ffbh_u32_e32 v5, v4
	v_min_u32_e32 v5, 32, v5
	v_sub_u32_e64 v5, v5, 4 clamp
	v_lshlrev_b32_e32 v7, v5, v4
	v_lshlrev_b32_e32 v5, 23, v5
	v_lshrrev_b32_e32 v7, 4, v7
	v_add_u32_e32 v6, 0x1000000, v4
	v_sub_u32_e32 v5, v7, v5
	v_ashrrev_i32_e32 v6, 8, v6
	v_add_u32_e32 v5, 0x3c000000, v5
	v_and_or_b32 v5, v6, s2, v5
	v_cmp_ne_u32_e32 vcc, 0, v4
	s_brev_b32 s2, 1
	s_nop 0
	v_cndmask_b32_e32 v4, 0, v5, vcc
	v_and_or_b32 v3, v3, s2, v4
	v_cvt_f64_f32_e32 v[4:5], v3
.LBB9_652:
	s_mov_b64 s[2:3], 0
.LBB9_653:
	s_andn2_b64 vcc, exec, s[2:3]
	s_cbranch_vccnz .LBB9_655
; %bb.654:
	global_load_ubyte v3, v[0:1], off
	s_movk_i32 s2, 0x7f00
	s_brev_b32 s3, 16
	s_waitcnt vmcnt(0)
	v_lshlrev_b16_e32 v4, 8, v3
	v_lshlrev_b32_e32 v3, 25, v3
	v_lshrrev_b32_e32 v5, 4, v3
	v_and_or_b32 v6, v4, s2, 0.5
	v_or_b32_e32 v5, 0x70000000, v5
	v_add_f32_e32 v6, -0.5, v6
	v_mul_f32_e32 v5, 0x7800000, v5
	v_cmp_gt_u32_e32 vcc, s3, v3
	v_bfe_i32 v4, v4, 0, 16
	s_brev_b32 s2, 1
	v_cndmask_b32_e32 v3, v5, v6, vcc
	v_and_or_b32 v3, v4, s2, v3
	v_cvt_f64_f32_e32 v[4:5], v3
.LBB9_655:
	s_mov_b64 s[6:7], 0
	s_mov_b64 s[2:3], -1
.LBB9_656:
	s_andn2_b64 vcc, exec, s[6:7]
	s_cbranch_vccnz .LBB9_667
; %bb.657:
	s_cmp_gt_i32 s10, 14
	s_cbranch_scc0 .LBB9_660
; %bb.658:
	s_cmp_eq_u32 s10, 15
	s_cbranch_scc0 .LBB9_661
; %bb.659:
	global_load_ushort v3, v[0:1], off
	s_mov_b64 s[2:3], -1
	s_mov_b64 s[4:5], 0
	s_waitcnt vmcnt(0)
	v_lshlrev_b32_e32 v3, 16, v3
	v_cvt_f64_f32_e32 v[4:5], v3
	s_branch .LBB9_662
.LBB9_660:
	s_mov_b64 s[6:7], -1
                                        ; implicit-def: $vgpr4_vgpr5
	s_branch .LBB9_663
.LBB9_661:
	s_mov_b64 s[4:5], -1
                                        ; implicit-def: $vgpr4_vgpr5
.LBB9_662:
	s_mov_b64 s[6:7], 0
.LBB9_663:
	s_and_b64 vcc, exec, s[6:7]
	s_cbranch_vccz .LBB9_667
; %bb.664:
	s_cmp_eq_u32 s10, 11
	s_cbranch_scc0 .LBB9_666
; %bb.665:
	global_load_ubyte v3, v[0:1], off
	s_waitcnt vmcnt(1)
	v_mov_b32_e32 v5, 0x3ff00000
	v_mov_b32_e32 v4, 0
	s_mov_b64 s[2:3], -1
	s_mov_b64 s[4:5], 0
	s_waitcnt vmcnt(0)
	v_cmp_ne_u16_e32 vcc, 0, v3
	s_nop 1
	v_cndmask_b32_e32 v5, 0, v5, vcc
	s_branch .LBB9_667
.LBB9_666:
	s_mov_b64 s[4:5], -1
                                        ; implicit-def: $vgpr4_vgpr5
.LBB9_667:
	s_mov_b64 s[6:7], 0
.LBB9_668:
	s_and_b64 vcc, exec, s[6:7]
	s_cbranch_vccz .LBB9_717
; %bb.669:
	s_cmp_lt_i32 s10, 5
	s_cbranch_scc1 .LBB9_674
; %bb.670:
	s_cmp_lt_i32 s10, 8
	s_cbranch_scc1 .LBB9_675
	;; [unrolled: 3-line block ×3, first 2 shown]
; %bb.672:
	s_cmp_gt_i32 s10, 9
	s_cbranch_scc0 .LBB9_677
; %bb.673:
	global_load_dwordx2 v[4:5], v[0:1], off
	s_mov_b64 s[2:3], 0
	s_branch .LBB9_678
.LBB9_674:
	s_mov_b64 s[2:3], -1
                                        ; implicit-def: $vgpr4_vgpr5
	s_branch .LBB9_696
.LBB9_675:
	s_mov_b64 s[2:3], -1
                                        ; implicit-def: $vgpr4_vgpr5
	s_branch .LBB9_684
.LBB9_676:
	s_mov_b64 s[2:3], -1
                                        ; implicit-def: $vgpr4_vgpr5
	s_branch .LBB9_681
.LBB9_677:
	s_mov_b64 s[2:3], -1
                                        ; implicit-def: $vgpr4_vgpr5
.LBB9_678:
	s_andn2_b64 vcc, exec, s[2:3]
	s_cbranch_vccnz .LBB9_680
; %bb.679:
	global_load_dword v3, v[0:1], off
	s_waitcnt vmcnt(0)
	v_cvt_f64_f32_e32 v[4:5], v3
.LBB9_680:
	s_mov_b64 s[2:3], 0
.LBB9_681:
	s_andn2_b64 vcc, exec, s[2:3]
	s_cbranch_vccnz .LBB9_683
; %bb.682:
	global_load_dword v3, v[0:1], off
	s_waitcnt vmcnt(0)
	v_cvt_f32_f16_e32 v3, v3
	v_cvt_f64_f32_e32 v[4:5], v3
.LBB9_683:
	s_mov_b64 s[2:3], 0
.LBB9_684:
	s_andn2_b64 vcc, exec, s[2:3]
	s_cbranch_vccnz .LBB9_695
; %bb.685:
	s_cmp_lt_i32 s10, 6
	s_cbranch_scc1 .LBB9_688
; %bb.686:
	s_cmp_gt_i32 s10, 6
	s_cbranch_scc0 .LBB9_689
; %bb.687:
	global_load_dwordx2 v[4:5], v[0:1], off
	s_mov_b64 s[2:3], 0
	s_branch .LBB9_690
.LBB9_688:
	s_mov_b64 s[2:3], -1
                                        ; implicit-def: $vgpr4_vgpr5
	s_branch .LBB9_693
.LBB9_689:
	s_mov_b64 s[2:3], -1
                                        ; implicit-def: $vgpr4_vgpr5
.LBB9_690:
	s_andn2_b64 vcc, exec, s[2:3]
	s_cbranch_vccnz .LBB9_692
; %bb.691:
	global_load_dword v3, v[0:1], off
	s_waitcnt vmcnt(0)
	v_cvt_f64_f32_e32 v[4:5], v3
.LBB9_692:
	s_mov_b64 s[2:3], 0
.LBB9_693:
	s_andn2_b64 vcc, exec, s[2:3]
	s_cbranch_vccnz .LBB9_695
; %bb.694:
	global_load_ushort v3, v[0:1], off
	s_waitcnt vmcnt(0)
	v_cvt_f32_f16_e32 v3, v3
	v_cvt_f64_f32_e32 v[4:5], v3
.LBB9_695:
	s_mov_b64 s[2:3], 0
.LBB9_696:
	s_andn2_b64 vcc, exec, s[2:3]
	s_cbranch_vccnz .LBB9_716
; %bb.697:
	s_cmp_lt_i32 s10, 2
	s_cbranch_scc1 .LBB9_701
; %bb.698:
	s_cmp_lt_i32 s10, 3
	s_cbranch_scc1 .LBB9_702
; %bb.699:
	s_cmp_gt_i32 s10, 3
	s_cbranch_scc0 .LBB9_703
; %bb.700:
	global_load_dwordx2 v[4:5], v[0:1], off
	s_mov_b64 s[2:3], 0
	s_waitcnt vmcnt(0)
	v_cvt_f64_i32_e32 v[6:7], v5
	v_cvt_f64_u32_e32 v[4:5], v4
	v_ldexp_f64 v[6:7], v[6:7], 32
	v_add_f64 v[4:5], v[6:7], v[4:5]
	s_branch .LBB9_704
.LBB9_701:
	s_mov_b64 s[2:3], -1
                                        ; implicit-def: $vgpr4_vgpr5
	s_branch .LBB9_710
.LBB9_702:
	s_mov_b64 s[2:3], -1
                                        ; implicit-def: $vgpr4_vgpr5
	s_branch .LBB9_707
.LBB9_703:
	s_mov_b64 s[2:3], -1
                                        ; implicit-def: $vgpr4_vgpr5
.LBB9_704:
	s_andn2_b64 vcc, exec, s[2:3]
	s_cbranch_vccnz .LBB9_706
; %bb.705:
	global_load_dword v3, v[0:1], off
	s_waitcnt vmcnt(0)
	v_cvt_f64_i32_e32 v[4:5], v3
.LBB9_706:
	s_mov_b64 s[2:3], 0
.LBB9_707:
	s_andn2_b64 vcc, exec, s[2:3]
	s_cbranch_vccnz .LBB9_709
; %bb.708:
	global_load_sshort v3, v[0:1], off
	s_waitcnt vmcnt(0)
	v_cvt_f64_i32_e32 v[4:5], v3
.LBB9_709:
	s_mov_b64 s[2:3], 0
.LBB9_710:
	s_andn2_b64 vcc, exec, s[2:3]
	s_cbranch_vccnz .LBB9_716
; %bb.711:
	s_cmp_gt_i32 s10, 0
	s_cbranch_scc0 .LBB9_713
; %bb.712:
	global_load_sbyte v3, v[0:1], off
	s_mov_b64 s[2:3], 0
	s_waitcnt vmcnt(0)
	v_cvt_f64_i32_e32 v[4:5], v3
	s_branch .LBB9_714
.LBB9_713:
	s_mov_b64 s[2:3], -1
                                        ; implicit-def: $vgpr4_vgpr5
.LBB9_714:
	s_andn2_b64 vcc, exec, s[2:3]
	s_cbranch_vccnz .LBB9_716
; %bb.715:
	global_load_ubyte v0, v[0:1], off
	s_waitcnt vmcnt(0)
	v_cvt_f64_u32_e32 v[4:5], v0
.LBB9_716:
	s_mov_b64 s[2:3], -1
.LBB9_717:
	s_andn2_b64 vcc, exec, s[2:3]
	s_cbranch_vccnz .LBB9_737
; %bb.718:
	s_mov_b32 s2, 0
	s_mov_b32 s3, 0x40200000
	s_waitcnt vmcnt(0)
	v_cmp_le_f64_e64 s[2:3], |v[4:5]|, s[2:3]
                                        ; implicit-def: $vgpr0_vgpr1
	s_and_saveexec_b64 s[6:7], s[2:3]
	s_xor_b64 s[2:3], exec, s[6:7]
	s_cbranch_execz .LBB9_724
; %bb.719:
	s_mov_b32 s6, 0xc3c4014
	v_fma_f64 v[0:1], |v[4:5]|, 0.5, -2.0
	v_mov_b32_e32 v6, 0xc38a0576
	v_mov_b32_e32 v7, 0xbc7857d0
	s_mov_b32 s7, 0x3c499f2a
	v_fmac_f64_e32 v[6:7], s[6:7], v[0:1]
	v_mov_b32_e32 v8, 0xc3c4014
	v_mov_b32_e32 v9, 0xbc499f2a
	s_mov_b32 s6, 0xe593bfac
	v_fmac_f64_e32 v[8:9], v[0:1], v[6:7]
	s_mov_b32 s7, 0x3ca663e3
	v_add_f64 v[8:9], v[8:9], s[6:7]
	s_mov_b32 s6, 0x7e0d1573
	v_fma_f64 v[6:7], v[0:1], v[8:9], -v[6:7]
	s_mov_b32 s7, 0xbcd3eaaa
	v_add_f64 v[6:7], v[6:7], s[6:7]
	s_mov_b32 s6, 0x615290c
	v_fma_f64 v[8:9], v[0:1], v[6:7], -v[8:9]
	;; [unrolled: 4-line block ×26, first 2 shown]
	s_mov_b32 s7, 0x3fd02a63
	v_add_f64 v[0:1], v[0:1], s[6:7]
	v_add_f64 v[0:1], v[0:1], -v[8:9]
	s_mov_b32 s6, 0x652b82fe
	v_mul_f64 v[0:1], v[0:1], 0.5
	s_mov_b32 s7, 0x3ff71547
	v_mul_f64 v[6:7], |v[4:5]|, v[0:1]
	v_mul_f64 v[0:1], |v[4:5]|, s[6:7]
	s_mov_b32 s6, 0xfefa39ef
	v_rndne_f64_e32 v[0:1], v[0:1]
	s_mov_b32 s7, 0xbfe62e42
	v_fma_f64 v[8:9], v[0:1], s[6:7], |v[4:5]|
	s_mov_b32 s6, 0x3b39803f
	s_mov_b32 s7, 0xbc7abc9e
	v_fmac_f64_e32 v[8:9], s[6:7], v[0:1]
	s_mov_b32 s6, 0x6a5dcb37
	v_mov_b32_e32 v12, 0xfca7ab0c
	v_mov_b32_e32 v13, 0x3e928af3
	s_mov_b32 s7, 0x3e5ade15
	v_fmac_f64_e32 v[12:13], s[6:7], v[8:9]
	v_mov_b32_e32 v14, 0x623fde64
	v_mov_b32_e32 v15, 0x3ec71dee
	v_fmac_f64_e32 v[14:15], v[8:9], v[12:13]
	v_mov_b32_e32 v12, 0x7c89e6b0
	v_mov_b32_e32 v13, 0x3efa0199
	;; [unrolled: 3-line block ×8, first 2 shown]
	v_fmac_f64_e32 v[12:13], v[8:9], v[14:15]
	v_fma_f64 v[12:13], v[8:9], v[12:13], 1.0
	v_cmp_ngt_f64_e32 vcc, 0, v[4:5]
	v_fma_f64 v[8:9], v[8:9], v[12:13], 1.0
	v_cvt_i32_f64_e32 v3, v[0:1]
                                        ; implicit-def: $vgpr0_vgpr1
	s_and_saveexec_b64 s[6:7], vcc
	s_xor_b64 s[6:7], exec, s[6:7]
; %bb.720:
	s_mov_b32 s8, 0
	s_mov_b32 s9, 0x40900000
	v_ldexp_f64 v[0:1], v[8:9], v3
	v_mov_b32_e32 v3, 0x7ff00000
	v_cmp_ngt_f64_e64 vcc, |v[4:5]|, s[8:9]
                                        ; implicit-def: $vgpr8_vgpr9
                                        ; implicit-def: $vgpr4_vgpr5
	s_nop 1
	v_cndmask_b32_e32 v1, v3, v1, vcc
	v_cndmask_b32_e32 v0, 0, v0, vcc
	v_mul_f64 v[0:1], v[0:1], v[6:7]
                                        ; implicit-def: $vgpr3
                                        ; implicit-def: $vgpr6_vgpr7
; %bb.721:
	s_andn2_saveexec_b64 s[6:7], s[6:7]
; %bb.722:
	s_mov_b32 s8, 0
	s_mov_b32 s9, 0x40900000
	v_ldexp_f64 v[0:1], -v[8:9], v3
	v_mov_b32_e32 v3, 0xfff00000
	v_cmp_ngt_f64_e64 vcc, |v[4:5]|, s[8:9]
	s_nop 1
	v_cndmask_b32_e32 v1, v3, v1, vcc
	v_cndmask_b32_e32 v0, 0, v0, vcc
	v_mul_f64 v[0:1], v[0:1], v[6:7]
; %bb.723:
	s_or_b64 exec, exec, s[6:7]
                                        ; implicit-def: $vgpr4_vgpr5
.LBB9_724:
	s_andn2_saveexec_b64 s[6:7], s[2:3]
	s_cbranch_execz .LBB9_730
; %bb.725:
	s_mov_b32 s2, 0
	v_and_b32_e32 v1, 0x7fffffff, v5
	v_mov_b32_e32 v0, v4
	s_mov_b32 s3, 0x40400000
	v_div_scale_f64 v[6:7], s[8:9], v[0:1], v[0:1], s[2:3]
	v_rcp_f64_e32 v[8:9], v[6:7]
	v_div_scale_f64 v[0:1], vcc, s[2:3], v[0:1], s[2:3]
	v_mov_b32_e32 v14, 0xfca7ab0c
	v_fma_f64 v[12:13], -v[6:7], v[8:9], 1.0
	v_fmac_f64_e32 v[8:9], v[8:9], v[12:13]
	v_fma_f64 v[12:13], -v[6:7], v[8:9], 1.0
	v_fmac_f64_e32 v[8:9], v[8:9], v[12:13]
	v_mul_f64 v[12:13], v[0:1], v[8:9]
	v_fma_f64 v[0:1], -v[6:7], v[12:13], v[0:1]
	v_div_fmas_f64 v[0:1], v[0:1], v[8:9], v[12:13]
	v_div_fixup_f64 v[0:1], v[0:1], |v[4:5]|, s[2:3]
	s_mov_b32 s2, 0xb352e8e6
	v_add_f64 v[0:1], v[0:1], -2.0
	v_mov_b32_e32 v6, 0xea87b950
	v_mov_b32_e32 v7, 0x3c545b8a
	s_mov_b32 s3, 0x3c61556d
	v_fmac_f64_e32 v[6:7], s[2:3], v[0:1]
	v_mov_b32_e32 v8, 0xb352e8e6
	v_mov_b32_e32 v9, 0xbc61556d
	s_mov_b32 s2, 0xb2532277
	v_fmac_f64_e32 v[8:9], v[0:1], v[6:7]
	s_mov_b32 s3, 0xbc8acea3
	v_add_f64 v[8:9], v[8:9], s[2:3]
	s_mov_b32 s2, 0x9c773320
	v_fma_f64 v[6:7], v[0:1], v[8:9], -v[6:7]
	s_mov_b32 s3, 0xbc82806c
	v_add_f64 v[6:7], v[6:7], s[2:3]
	s_mov_b32 s2, 0xfceb588a
	v_fma_f64 v[8:9], v[0:1], v[6:7], -v[8:9]
	;; [unrolled: 4-line block ×22, first 2 shown]
	s_mov_b32 s3, 0x3fe8ea18
	v_add_f64 v[0:1], v[0:1], s[2:3]
	s_mov_b32 s2, 0x652b82fe
	s_mov_b32 s3, 0x3ff71547
	v_mul_f64 v[6:7], |v[4:5]|, s[2:3]
	s_mov_b32 s2, 0xfefa39ef
	v_rndne_f64_e32 v[6:7], v[6:7]
	s_mov_b32 s3, 0xbfe62e42
	v_fma_f64 v[12:13], v[6:7], s[2:3], |v[4:5]|
	s_mov_b32 s2, 0x3b39803f
	s_mov_b32 s3, 0xbc7abc9e
	v_fmac_f64_e32 v[12:13], s[2:3], v[6:7]
	s_mov_b32 s2, 0x6a5dcb37
	v_mov_b32_e32 v15, 0x3e928af3
	s_mov_b32 s3, 0x3e5ade15
	v_fmac_f64_e32 v[14:15], s[2:3], v[12:13]
	v_mov_b32_e32 v16, 0x623fde64
	v_mov_b32_e32 v17, 0x3ec71dee
	v_fmac_f64_e32 v[16:17], v[12:13], v[14:15]
	v_mov_b32_e32 v14, 0x7c89e6b0
	v_mov_b32_e32 v15, 0x3efa0199
	v_fmac_f64_e32 v[14:15], v[12:13], v[16:17]
	v_mov_b32_e32 v16, 0x14761f6e
	v_mov_b32_e32 v17, 0x3f2a01a0
	v_fmac_f64_e32 v[16:17], v[12:13], v[14:15]
	v_mov_b32_e32 v14, 0x1852b7b0
	v_mov_b32_e32 v15, 0x3f56c16c
	v_fmac_f64_e32 v[14:15], v[12:13], v[16:17]
	v_mov_b32_e32 v16, 0x11122322
	v_mov_b32_e32 v17, 0x3f811111
	v_fmac_f64_e32 v[16:17], v[12:13], v[14:15]
	v_mov_b32_e32 v14, 0x555502a1
	v_mov_b32_e32 v15, 0x3fa55555
	v_fmac_f64_e32 v[14:15], v[12:13], v[16:17]
	v_mov_b32_e32 v16, 0x55555511
	v_mov_b32_e32 v17, 0x3fc55555
	v_fmac_f64_e32 v[16:17], v[12:13], v[14:15]
	v_mov_b32_e32 v14, 11
	v_mov_b32_e32 v15, 0x3fe00000
	v_fmac_f64_e32 v[14:15], v[12:13], v[16:17]
	v_fma_f64 v[14:15], v[12:13], v[14:15], 1.0
	s_mov_b32 s2, 0
	v_fma_f64 v[12:13], v[12:13], v[14:15], 1.0
	v_cvt_i32_f64_e32 v3, v[6:7]
	s_mov_b32 s3, 0x40900000
	v_ldexp_f64 v[6:7], v[12:13], v3
	v_mov_b32_e32 v3, 0x7ff00000
	v_cmp_ngt_f64_e64 s[2:3], |v[4:5]|, s[2:3]
	v_cmp_ngt_f64_e32 vcc, 0, v[4:5]
	v_add_f64 v[8:9], v[0:1], -v[8:9]
	v_cndmask_b32_e64 v7, v3, v7, s[2:3]
	v_cndmask_b32_e64 v6, 0, v6, s[2:3]
                                        ; implicit-def: $vgpr0_vgpr1
	s_and_saveexec_b64 s[2:3], vcc
	s_xor_b64 s[2:3], exec, s[2:3]
	s_cbranch_execz .LBB9_727
; %bb.726:
	s_mov_b32 s8, 0
	s_brev_b32 s9, 8
	v_mov_b32_e32 v0, 0x100
	v_cmp_lt_f64_e64 vcc, |v[4:5]|, s[8:9]
	v_mul_f64 v[8:9], v[8:9], 0.5
	v_mul_f64 v[6:7], v[6:7], v[8:9]
	v_cndmask_b32_e32 v0, 0, v0, vcc
	v_ldexp_f64 v[0:1], |v[4:5]|, v0
	v_rsq_f64_e32 v[4:5], v[0:1]
	v_mov_b32_e32 v3, 0xffffff80
	v_cndmask_b32_e32 v3, 0, v3, vcc
	v_mul_f64 v[8:9], v[0:1], v[4:5]
	v_mul_f64 v[4:5], v[4:5], 0.5
	v_fma_f64 v[12:13], -v[4:5], v[8:9], 0.5
	v_fmac_f64_e32 v[8:9], v[8:9], v[12:13]
	v_fma_f64 v[14:15], -v[8:9], v[8:9], v[0:1]
	v_fmac_f64_e32 v[4:5], v[4:5], v[12:13]
	v_fmac_f64_e32 v[8:9], v[14:15], v[4:5]
	v_fma_f64 v[12:13], -v[8:9], v[8:9], v[0:1]
	v_fmac_f64_e32 v[8:9], v[12:13], v[4:5]
	v_ldexp_f64 v[4:5], v[8:9], v3
	v_mov_b32_e32 v3, 0x260
	v_cmp_class_f64_e32 vcc, v[0:1], v3
	s_nop 1
	v_cndmask_b32_e32 v1, v5, v1, vcc
	v_cndmask_b32_e32 v0, v4, v0, vcc
	v_div_scale_f64 v[4:5], s[8:9], v[0:1], v[0:1], v[6:7]
	v_rcp_f64_e32 v[8:9], v[4:5]
	s_nop 0
	v_fma_f64 v[12:13], -v[4:5], v[8:9], 1.0
	v_fmac_f64_e32 v[8:9], v[8:9], v[12:13]
	v_fma_f64 v[12:13], -v[4:5], v[8:9], 1.0
	v_fmac_f64_e32 v[8:9], v[8:9], v[12:13]
	v_div_scale_f64 v[12:13], vcc, v[6:7], v[0:1], v[6:7]
	v_mul_f64 v[14:15], v[12:13], v[8:9]
	v_fma_f64 v[4:5], -v[4:5], v[14:15], v[12:13]
	s_nop 1
	v_div_fmas_f64 v[4:5], v[4:5], v[8:9], v[14:15]
	v_div_fixup_f64 v[0:1], v[4:5], v[0:1], v[6:7]
                                        ; implicit-def: $vgpr4_vgpr5
                                        ; implicit-def: $vgpr8_vgpr9
                                        ; implicit-def: $vgpr6_vgpr7
.LBB9_727:
	s_andn2_saveexec_b64 s[2:3], s[2:3]
	s_cbranch_execz .LBB9_729
; %bb.728:
	s_mov_b32 s8, 0
	s_brev_b32 s9, 8
	v_mov_b32_e32 v0, 0x100
	v_cmp_lt_f64_e64 vcc, |v[4:5]|, s[8:9]
	v_mov_b32_e32 v3, 0xffffff80
	s_nop 0
	v_cndmask_b32_e32 v0, 0, v0, vcc
	v_ldexp_f64 v[0:1], |v[4:5]|, v0
	v_rsq_f64_e32 v[4:5], v[0:1]
	v_cndmask_b32_e32 v3, 0, v3, vcc
	v_mul_f64 v[12:13], v[0:1], v[4:5]
	v_mul_f64 v[4:5], v[4:5], 0.5
	v_fma_f64 v[14:15], -v[4:5], v[12:13], 0.5
	v_fmac_f64_e32 v[12:13], v[12:13], v[14:15]
	v_fma_f64 v[16:17], -v[12:13], v[12:13], v[0:1]
	v_fmac_f64_e32 v[4:5], v[4:5], v[14:15]
	v_fmac_f64_e32 v[12:13], v[16:17], v[4:5]
	v_fma_f64 v[14:15], -v[12:13], v[12:13], v[0:1]
	v_fmac_f64_e32 v[12:13], v[14:15], v[4:5]
	v_ldexp_f64 v[4:5], v[12:13], v3
	v_mov_b32_e32 v3, 0x260
	v_cmp_class_f64_e32 vcc, v[0:1], v3
	s_nop 1
	v_cndmask_b32_e32 v1, v5, v1, vcc
	v_cndmask_b32_e32 v0, v4, v0, vcc
	v_mul_f64 v[4:5], v[8:9], -0.5
	v_mul_f64 v[4:5], v[6:7], v[4:5]
	v_div_scale_f64 v[6:7], s[8:9], v[0:1], v[0:1], v[4:5]
	v_rcp_f64_e32 v[8:9], v[6:7]
	s_nop 0
	v_fma_f64 v[12:13], -v[6:7], v[8:9], 1.0
	v_fmac_f64_e32 v[8:9], v[8:9], v[12:13]
	v_fma_f64 v[12:13], -v[6:7], v[8:9], 1.0
	v_fmac_f64_e32 v[8:9], v[8:9], v[12:13]
	v_div_scale_f64 v[12:13], vcc, v[4:5], v[0:1], v[4:5]
	v_mul_f64 v[14:15], v[12:13], v[8:9]
	v_fma_f64 v[6:7], -v[6:7], v[14:15], v[12:13]
	s_nop 1
	v_div_fmas_f64 v[6:7], v[6:7], v[8:9], v[14:15]
	v_div_fixup_f64 v[0:1], v[6:7], v[0:1], v[4:5]
.LBB9_729:
	s_or_b64 exec, exec, s[2:3]
.LBB9_730:
	s_or_b64 exec, exec, s[6:7]
	v_mov_b32_e32 v3, 0
	s_and_b32 s12, s73, 0xff
	s_cmp_lt_i32 s12, 11
	v_lshl_add_u64 v[4:5], s[20:21], 0, v[2:3]
	s_cbranch_scc1 .LBB9_738
; %bb.731:
	s_and_b32 s13, 0xffff, s12
	s_cmp_gt_i32 s13, 25
	s_cbranch_scc0 .LBB9_739
; %bb.732:
	s_cmp_gt_i32 s13, 28
	s_cbranch_scc0 .LBB9_740
; %bb.733:
	;; [unrolled: 3-line block ×4, first 2 shown]
	s_mov_b64 s[8:9], 0
	s_mov_b64 s[2:3], -1
	s_cmp_eq_u32 s13, 46
	s_mov_b64 s[6:7], 0
	s_cbranch_scc0 .LBB9_743
; %bb.736:
	v_cvt_f32_f64_e32 v2, v[0:1]
	v_bfe_u32 v3, v2, 16, 1
	s_movk_i32 s2, 0x7fff
	v_add3_u32 v3, v2, v3, s2
	v_cmp_o_f32_e32 vcc, v2, v2
	v_mov_b32_e32 v2, 0x7fc0
	s_mov_b64 s[6:7], -1
	v_cndmask_b32_sdwa v2, v2, v3, vcc dst_sel:DWORD dst_unused:UNUSED_PAD src0_sel:DWORD src1_sel:WORD_1
	global_store_dword v[4:5], v2, off
	s_mov_b64 s[2:3], 0
	s_branch .LBB9_743
.LBB9_737:
	s_mov_b64 s[6:7], 0
	s_mov_b64 s[2:3], s[62:63]
	s_branch .LBB9_854
.LBB9_738:
	s_mov_b64 s[8:9], -1
	s_mov_b64 s[6:7], 0
	s_mov_b64 s[2:3], s[62:63]
	s_branch .LBB9_812
.LBB9_739:
	s_mov_b64 s[8:9], -1
	s_mov_b64 s[6:7], 0
	s_mov_b64 s[2:3], s[62:63]
	s_branch .LBB9_770
.LBB9_740:
	s_mov_b64 s[8:9], -1
	s_mov_b64 s[6:7], 0
	s_mov_b64 s[2:3], s[62:63]
	s_branch .LBB9_753
.LBB9_741:
	s_mov_b64 s[8:9], -1
	s_mov_b64 s[6:7], 0
	s_mov_b64 s[2:3], s[62:63]
	s_branch .LBB9_749
.LBB9_742:
	s_mov_b64 s[8:9], -1
	s_mov_b64 s[6:7], 0
	s_mov_b64 s[2:3], s[62:63]
.LBB9_743:
	s_and_b64 vcc, exec, s[8:9]
	s_cbranch_vccz .LBB9_748
; %bb.744:
	s_cmp_eq_u32 s13, 44
	s_mov_b64 s[2:3], -1
	s_cbranch_scc0 .LBB9_748
; %bb.745:
	v_cvt_f32_f64_e32 v2, v[0:1]
	v_bfe_u32 v3, v2, 23, 8
	s_movk_i32 s2, 0xff
	v_cmp_ne_u32_e32 vcc, s2, v3
	v_mov_b32_e32 v6, 0xff
	s_and_saveexec_b64 s[6:7], vcc
; %bb.746:
	s_mov_b32 s2, 0x3fffff
	v_lshrrev_b32_e32 v6, 23, v2
	v_and_b32_e32 v7, 0x400000, v2
	v_and_or_b32 v2, v2, s2, v3
	v_cmp_ne_u32_e32 vcc, 0, v7
	v_cmp_ne_u32_e64 s[2:3], 0, v2
	s_and_b64 s[2:3], vcc, s[2:3]
	s_nop 0
	v_cndmask_b32_e64 v2, 0, 1, s[2:3]
	v_add_u32_e32 v6, v6, v2
; %bb.747:
	s_or_b64 exec, exec, s[6:7]
	s_mov_b64 s[6:7], -1
	s_mov_b64 s[2:3], 0
	global_store_byte v[4:5], v6, off
.LBB9_748:
	s_mov_b64 s[8:9], 0
.LBB9_749:
	s_and_b64 vcc, exec, s[8:9]
	s_cbranch_vccz .LBB9_752
; %bb.750:
	s_cmp_eq_u32 s13, 29
	s_mov_b64 s[2:3], -1
	s_cbranch_scc0 .LBB9_752
; %bb.751:
	v_trunc_f64_e32 v[2:3], v[0:1]
	s_movk_i32 s2, 0xffe0
	v_ldexp_f64 v[6:7], v[2:3], s2
	v_floor_f64_e32 v[6:7], v[6:7]
	v_fmac_f64_e32 v[2:3], 0xc1f00000, v[6:7]
	v_cvt_u32_f64_e32 v9, v[6:7]
	v_cvt_u32_f64_e32 v8, v[2:3]
	global_store_dwordx2 v[4:5], v[8:9], off
	s_mov_b64 s[6:7], -1
	s_mov_b64 s[2:3], 0
.LBB9_752:
	s_mov_b64 s[8:9], 0
.LBB9_753:
	s_and_b64 vcc, exec, s[8:9]
	s_cbranch_vccz .LBB9_769
; %bb.754:
	s_cmp_lt_i32 s13, 27
	s_mov_b64 s[6:7], -1
	s_cbranch_scc1 .LBB9_760
; %bb.755:
	s_cmp_gt_i32 s13, 27
	v_cvt_u32_f64_e32 v2, v[0:1]
	s_cbranch_scc0 .LBB9_757
; %bb.756:
	s_mov_b64 s[6:7], 0
	global_store_dword v[4:5], v2, off
.LBB9_757:
	s_andn2_b64 vcc, exec, s[6:7]
	s_cbranch_vccnz .LBB9_759
; %bb.758:
	global_store_short v[4:5], v2, off
.LBB9_759:
	s_mov_b64 s[6:7], 0
.LBB9_760:
	s_andn2_b64 vcc, exec, s[6:7]
	s_cbranch_vccnz .LBB9_768
; %bb.761:
	v_cvt_f32_f64_e32 v2, v[0:1]
	v_and_b32_e32 v3, 0x7fffffff, v2
	s_mov_b32 s6, 0x43800000
	v_cmp_gt_u32_e32 vcc, s6, v3
	v_mov_b32_e32 v6, 0x80
	s_and_saveexec_b64 s[6:7], vcc
	s_cbranch_execz .LBB9_767
; %bb.762:
	s_mov_b32 s8, 0x3bffffff
	v_cmp_lt_u32_e32 vcc, s8, v3
	s_mov_b64 s[8:9], 0
                                        ; implicit-def: $vgpr3
	s_and_saveexec_b64 s[10:11], vcc
	s_xor_b64 s[10:11], exec, s[10:11]
	s_cbranch_execz .LBB9_885
; %bb.763:
	v_bfe_u32 v3, v2, 20, 1
	s_mov_b32 s14, 0x487ffff
	v_add3_u32 v3, v2, v3, s14
	s_mov_b64 s[8:9], exec
	v_lshrrev_b32_e32 v3, 20, v3
	s_andn2_saveexec_b64 s[10:11], s[10:11]
	s_cbranch_execnz .LBB9_886
.LBB9_764:
	s_or_b64 exec, exec, s[10:11]
	v_mov_b32_e32 v6, 0
	s_and_saveexec_b64 s[10:11], s[8:9]
.LBB9_765:
	v_lshrrev_b32_e32 v2, 24, v2
	s_movk_i32 s8, 0x80
	v_and_or_b32 v6, v2, s8, v3
.LBB9_766:
	s_or_b64 exec, exec, s[10:11]
.LBB9_767:
	s_or_b64 exec, exec, s[6:7]
	global_store_byte v[4:5], v6, off
.LBB9_768:
	s_mov_b64 s[6:7], -1
.LBB9_769:
	s_mov_b64 s[8:9], 0
.LBB9_770:
	s_and_b64 vcc, exec, s[8:9]
	s_cbranch_vccz .LBB9_811
; %bb.771:
	s_cmp_gt_i32 s13, 22
	s_mov_b64 s[8:9], -1
	s_cbranch_scc0 .LBB9_803
; %bb.772:
	s_cmp_lt_i32 s13, 24
	s_mov_b64 s[6:7], -1
	s_cbranch_scc1 .LBB9_792
; %bb.773:
	s_cmp_gt_i32 s13, 24
	s_cbranch_scc0 .LBB9_781
; %bb.774:
	v_cvt_f32_f64_e32 v2, v[0:1]
	v_and_b32_e32 v3, 0x7fffffff, v2
	s_mov_b32 s6, 0x47800000
	v_cmp_gt_u32_e32 vcc, s6, v3
	v_mov_b32_e32 v6, 0x80
	s_and_saveexec_b64 s[6:7], vcc
	s_cbranch_execz .LBB9_780
; %bb.775:
	s_mov_b32 s8, 0x37ffffff
	v_cmp_lt_u32_e32 vcc, s8, v3
	s_mov_b64 s[8:9], 0
                                        ; implicit-def: $vgpr3
	s_and_saveexec_b64 s[10:11], vcc
	s_xor_b64 s[10:11], exec, s[10:11]
	s_cbranch_execz .LBB9_888
; %bb.776:
	v_bfe_u32 v3, v2, 21, 1
	s_mov_b32 s14, 0x88fffff
	v_add3_u32 v3, v2, v3, s14
	s_mov_b64 s[8:9], exec
	v_lshrrev_b32_e32 v3, 21, v3
	s_andn2_saveexec_b64 s[10:11], s[10:11]
	s_cbranch_execnz .LBB9_889
.LBB9_777:
	s_or_b64 exec, exec, s[10:11]
	v_mov_b32_e32 v6, 0
	s_and_saveexec_b64 s[10:11], s[8:9]
.LBB9_778:
	v_lshrrev_b32_e32 v2, 24, v2
	s_movk_i32 s8, 0x80
	v_and_or_b32 v6, v2, s8, v3
.LBB9_779:
	s_or_b64 exec, exec, s[10:11]
.LBB9_780:
	s_or_b64 exec, exec, s[6:7]
	s_mov_b64 s[6:7], 0
	global_store_byte v[4:5], v6, off
.LBB9_781:
	s_and_b64 vcc, exec, s[6:7]
	s_cbranch_vccz .LBB9_791
; %bb.782:
	v_cvt_f32_f64_e32 v2, v[0:1]
	v_and_b32_e32 v6, 0x7fffffff, v2
	s_mov_b32 s6, 0x43f00000
	v_cmp_gt_u32_e32 vcc, s6, v6
                                        ; implicit-def: $vgpr3
	s_and_saveexec_b64 s[6:7], vcc
	s_xor_b64 s[6:7], exec, s[6:7]
	s_cbranch_execz .LBB9_788
; %bb.783:
	s_mov_b32 s8, 0x3c7fffff
	v_cmp_lt_u32_e32 vcc, s8, v6
                                        ; implicit-def: $vgpr3
	s_and_saveexec_b64 s[8:9], vcc
	s_xor_b64 s[8:9], exec, s[8:9]
; %bb.784:
	v_bfe_u32 v3, v2, 20, 1
	s_mov_b32 s10, 0x407ffff
	v_add3_u32 v3, v2, v3, s10
	v_lshrrev_b32_e32 v6, 20, v3
	v_and_b32_e32 v3, 0xff00000, v3
	s_mov_b32 s10, 0x7f00000
	v_mov_b32_e32 v7, 0x7e
	v_cmp_ne_u32_e32 vcc, s10, v3
	s_nop 1
	v_cndmask_b32_e32 v3, v7, v6, vcc
; %bb.785:
	s_andn2_saveexec_b64 s[8:9], s[8:9]
; %bb.786:
	s_mov_b32 s10, 0x46800000
	v_add_f32_e64 v3, |v2|, s10
; %bb.787:
	s_or_b64 exec, exec, s[8:9]
                                        ; implicit-def: $vgpr6
.LBB9_788:
	s_andn2_saveexec_b64 s[6:7], s[6:7]
; %bb.789:
	s_mov_b32 s8, 0x7f800000
	v_mov_b32_e32 v3, 0x7e
	v_mov_b32_e32 v7, 0x7f
	v_cmp_lt_u32_e32 vcc, s8, v6
	s_nop 1
	v_cndmask_b32_e32 v3, v3, v7, vcc
; %bb.790:
	s_or_b64 exec, exec, s[6:7]
	v_lshrrev_b32_e32 v2, 24, v2
	s_movk_i32 s6, 0x80
	v_and_or_b32 v2, v2, s6, v3
	global_store_byte v[4:5], v2, off
.LBB9_791:
	s_mov_b64 s[6:7], 0
.LBB9_792:
	s_andn2_b64 vcc, exec, s[6:7]
	s_cbranch_vccnz .LBB9_802
; %bb.793:
	v_cvt_f32_f64_e32 v2, v[0:1]
	v_and_b32_e32 v6, 0x7fffffff, v2
	s_mov_b32 s6, 0x47800000
	v_cmp_gt_u32_e32 vcc, s6, v6
                                        ; implicit-def: $vgpr3
	s_and_saveexec_b64 s[6:7], vcc
	s_xor_b64 s[6:7], exec, s[6:7]
	s_cbranch_execz .LBB9_799
; %bb.794:
	s_mov_b32 s8, 0x387fffff
	v_cmp_lt_u32_e32 vcc, s8, v6
                                        ; implicit-def: $vgpr3
	s_and_saveexec_b64 s[8:9], vcc
	s_xor_b64 s[8:9], exec, s[8:9]
; %bb.795:
	v_bfe_u32 v3, v2, 21, 1
	s_mov_b32 s10, 0x80fffff
	v_add3_u32 v3, v2, v3, s10
	v_lshrrev_b32_e32 v3, 21, v3
; %bb.796:
	s_andn2_saveexec_b64 s[8:9], s[8:9]
; %bb.797:
	s_mov_b32 s10, 0x43000000
	v_add_f32_e64 v3, |v2|, s10
; %bb.798:
	s_or_b64 exec, exec, s[8:9]
                                        ; implicit-def: $vgpr6
.LBB9_799:
	s_andn2_saveexec_b64 s[6:7], s[6:7]
; %bb.800:
	s_mov_b32 s8, 0x7f800000
	v_mov_b32_e32 v3, 0x7c
	v_mov_b32_e32 v7, 0x7f
	v_cmp_lt_u32_e32 vcc, s8, v6
	s_nop 1
	v_cndmask_b32_e32 v3, v3, v7, vcc
; %bb.801:
	s_or_b64 exec, exec, s[6:7]
	v_lshrrev_b32_e32 v2, 24, v2
	s_movk_i32 s6, 0x80
	v_and_or_b32 v2, v2, s6, v3
	global_store_byte v[4:5], v2, off
.LBB9_802:
	s_mov_b64 s[8:9], 0
	s_mov_b64 s[6:7], -1
.LBB9_803:
	s_andn2_b64 vcc, exec, s[8:9]
	s_cbranch_vccnz .LBB9_811
; %bb.804:
	s_cmp_gt_i32 s13, 14
	s_mov_b64 s[8:9], -1
	s_cbranch_scc0 .LBB9_808
; %bb.805:
	s_cmp_eq_u32 s13, 15
	s_mov_b64 s[2:3], -1
	s_cbranch_scc0 .LBB9_807
; %bb.806:
	v_cvt_f32_f64_e32 v2, v[0:1]
	v_bfe_u32 v3, v2, 16, 1
	s_movk_i32 s2, 0x7fff
	v_add3_u32 v3, v2, v3, s2
	v_cmp_o_f32_e32 vcc, v2, v2
	v_mov_b32_e32 v2, 0x7fc0
	s_mov_b64 s[6:7], -1
	v_cndmask_b32_sdwa v2, v2, v3, vcc dst_sel:DWORD dst_unused:UNUSED_PAD src0_sel:DWORD src1_sel:WORD_1
	global_store_short v[4:5], v2, off
	s_mov_b64 s[2:3], 0
.LBB9_807:
	s_mov_b64 s[8:9], 0
.LBB9_808:
	s_and_b64 vcc, exec, s[8:9]
	s_cbranch_vccz .LBB9_811
; %bb.809:
	s_cmp_eq_u32 s13, 11
	s_mov_b64 s[2:3], -1
	s_cbranch_scc0 .LBB9_811
; %bb.810:
	v_cmp_neq_f64_e32 vcc, 0, v[0:1]
	s_mov_b64 s[2:3], 0
	s_mov_b64 s[6:7], -1
	v_cndmask_b32_e64 v2, 0, 1, vcc
	global_store_byte v[4:5], v2, off
.LBB9_811:
	s_mov_b64 s[8:9], 0
.LBB9_812:
	s_and_b64 vcc, exec, s[8:9]
	s_cbranch_vccz .LBB9_851
; %bb.813:
	s_and_b32 s8, 0xffff, s12
	s_cmp_lt_i32 s8, 5
	s_mov_b64 s[6:7], -1
	s_cbranch_scc1 .LBB9_834
; %bb.814:
	s_cmp_lt_i32 s8, 8
	s_cbranch_scc1 .LBB9_824
; %bb.815:
	s_cmp_lt_i32 s8, 9
	s_cbranch_scc1 .LBB9_821
; %bb.816:
	s_cmp_gt_i32 s8, 9
	s_cbranch_scc0 .LBB9_818
; %bb.817:
	v_mov_b32_e32 v2, 0
	v_mov_b32_e32 v3, v2
	s_mov_b64 s[6:7], 0
	global_store_dwordx4 v[4:5], v[0:3], off
.LBB9_818:
	s_andn2_b64 vcc, exec, s[6:7]
	s_cbranch_vccnz .LBB9_820
; %bb.819:
	v_cvt_f32_f64_e32 v2, v[0:1]
	v_mov_b32_e32 v3, 0
	global_store_dwordx2 v[4:5], v[2:3], off
.LBB9_820:
	s_mov_b64 s[6:7], 0
.LBB9_821:
	s_andn2_b64 vcc, exec, s[6:7]
	s_cbranch_vccnz .LBB9_823
; %bb.822:
	s_movk_i32 s6, 0x1ff
	v_and_or_b32 v2, v1, s6, v0
	v_cmp_ne_u32_e32 vcc, 0, v2
	v_lshrrev_b32_e32 v3, 8, v1
	s_movk_i32 s6, 0xffe
	v_cndmask_b32_e64 v2, 0, 1, vcc
	v_bfe_u32 v6, v1, 20, 11
	v_and_or_b32 v2, v3, s6, v2
	v_sub_u32_e32 v7, 0x3f1, v6
	v_or_b32_e32 v3, 0x1000, v2
	v_med3_i32 v7, v7, 0, 13
	v_lshrrev_b32_e32 v8, v7, v3
	v_lshlrev_b32_e32 v7, v7, v8
	v_cmp_ne_u32_e32 vcc, v7, v3
	v_add_u32_e32 v6, 0xfffffc10, v6
	v_lshl_or_b32 v7, v6, 12, v2
	v_cndmask_b32_e64 v3, 0, 1, vcc
	v_or_b32_e32 v3, v8, v3
	v_cmp_gt_i32_e32 vcc, 1, v6
	s_movk_i32 s6, 0x40f
	s_nop 0
	v_cndmask_b32_e32 v3, v7, v3, vcc
	v_and_b32_e32 v7, 7, v3
	v_cmp_lt_i32_e32 vcc, 5, v7
	v_lshrrev_b32_e32 v3, 2, v3
	s_nop 0
	v_cndmask_b32_e64 v8, 0, 1, vcc
	v_cmp_eq_u32_e32 vcc, 3, v7
	s_nop 1
	v_cndmask_b32_e64 v7, 0, 1, vcc
	v_or_b32_e32 v7, v7, v8
	v_add_u32_e32 v3, v3, v7
	v_mov_b32_e32 v7, 0x7c00
	v_cmp_gt_i32_e32 vcc, 31, v6
	v_mov_b32_e32 v8, 0x7e00
	s_nop 0
	v_cndmask_b32_e32 v3, v7, v3, vcc
	v_cmp_ne_u32_e32 vcc, 0, v2
	s_nop 1
	v_cndmask_b32_e32 v2, v7, v8, vcc
	v_cmp_eq_u32_e32 vcc, s6, v6
	s_mov_b32 s6, 0x8000
	s_nop 0
	v_cndmask_b32_e32 v2, v3, v2, vcc
	v_and_b32_sdwa v3, v1, s6 dst_sel:DWORD dst_unused:UNUSED_PAD src0_sel:WORD_1 src1_sel:DWORD
	s_mov_b32 s6, 0xffff
	v_bitop3_b32 v2, v3, s6, v2 bitop3:0xc8
	global_store_dword v[4:5], v2, off
.LBB9_823:
	s_mov_b64 s[6:7], 0
.LBB9_824:
	s_andn2_b64 vcc, exec, s[6:7]
	s_cbranch_vccnz .LBB9_833
; %bb.825:
	s_cmp_lt_i32 s8, 6
	s_mov_b64 s[6:7], -1
	s_cbranch_scc1 .LBB9_831
; %bb.826:
	s_cmp_gt_i32 s8, 6
	s_cbranch_scc0 .LBB9_828
; %bb.827:
	s_mov_b64 s[6:7], 0
	global_store_dwordx2 v[4:5], v[0:1], off
.LBB9_828:
	s_andn2_b64 vcc, exec, s[6:7]
	s_cbranch_vccnz .LBB9_830
; %bb.829:
	v_cvt_f32_f64_e32 v2, v[0:1]
	global_store_dword v[4:5], v2, off
.LBB9_830:
	s_mov_b64 s[6:7], 0
.LBB9_831:
	s_andn2_b64 vcc, exec, s[6:7]
	s_cbranch_vccnz .LBB9_833
; %bb.832:
	s_movk_i32 s6, 0x1ff
	v_and_or_b32 v2, v1, s6, v0
	v_cmp_ne_u32_e32 vcc, 0, v2
	v_lshrrev_b32_e32 v3, 8, v1
	s_movk_i32 s6, 0xffe
	v_cndmask_b32_e64 v2, 0, 1, vcc
	v_bfe_u32 v6, v1, 20, 11
	v_and_or_b32 v2, v3, s6, v2
	v_sub_u32_e32 v7, 0x3f1, v6
	v_or_b32_e32 v3, 0x1000, v2
	v_med3_i32 v7, v7, 0, 13
	v_lshrrev_b32_e32 v8, v7, v3
	v_lshlrev_b32_e32 v7, v7, v8
	v_cmp_ne_u32_e32 vcc, v7, v3
	v_add_u32_e32 v6, 0xfffffc10, v6
	v_lshl_or_b32 v7, v6, 12, v2
	v_cndmask_b32_e64 v3, 0, 1, vcc
	v_or_b32_e32 v3, v8, v3
	v_cmp_gt_i32_e32 vcc, 1, v6
	s_movk_i32 s6, 0x40f
	s_nop 0
	v_cndmask_b32_e32 v3, v7, v3, vcc
	v_and_b32_e32 v7, 7, v3
	v_cmp_lt_i32_e32 vcc, 5, v7
	v_lshrrev_b32_e32 v3, 2, v3
	s_nop 0
	v_cndmask_b32_e64 v8, 0, 1, vcc
	v_cmp_eq_u32_e32 vcc, 3, v7
	s_nop 1
	v_cndmask_b32_e64 v7, 0, 1, vcc
	v_or_b32_e32 v7, v7, v8
	v_add_u32_e32 v3, v3, v7
	v_mov_b32_e32 v7, 0x7c00
	v_cmp_gt_i32_e32 vcc, 31, v6
	v_mov_b32_e32 v8, 0x7e00
	s_nop 0
	v_cndmask_b32_e32 v3, v7, v3, vcc
	v_cmp_ne_u32_e32 vcc, 0, v2
	s_nop 1
	v_cndmask_b32_e32 v2, v7, v8, vcc
	v_cmp_eq_u32_e32 vcc, s6, v6
	s_mov_b32 s6, 0x8000
	s_nop 0
	v_cndmask_b32_e32 v2, v3, v2, vcc
	v_lshrrev_b32_e32 v3, 16, v1
	v_and_or_b32 v2, v3, s6, v2
	global_store_short v[4:5], v2, off
.LBB9_833:
	s_mov_b64 s[6:7], 0
.LBB9_834:
	s_andn2_b64 vcc, exec, s[6:7]
	s_cbranch_vccnz .LBB9_850
; %bb.835:
	s_cmp_lt_i32 s8, 2
	s_mov_b64 s[6:7], -1
	s_cbranch_scc1 .LBB9_845
; %bb.836:
	s_cmp_lt_i32 s8, 3
	s_cbranch_scc1 .LBB9_842
; %bb.837:
	s_cmp_gt_i32 s8, 3
	s_cbranch_scc0 .LBB9_839
; %bb.838:
	v_trunc_f64_e32 v[2:3], v[0:1]
	s_movk_i32 s6, 0xffe0
	v_ldexp_f64 v[6:7], v[2:3], s6
	v_floor_f64_e32 v[6:7], v[6:7]
	v_fmac_f64_e32 v[2:3], 0xc1f00000, v[6:7]
	v_cvt_i32_f64_e32 v9, v[6:7]
	v_cvt_u32_f64_e32 v8, v[2:3]
	s_mov_b64 s[6:7], 0
	global_store_dwordx2 v[4:5], v[8:9], off
.LBB9_839:
	s_andn2_b64 vcc, exec, s[6:7]
	s_cbranch_vccnz .LBB9_841
; %bb.840:
	v_cvt_i32_f64_e32 v2, v[0:1]
	global_store_dword v[4:5], v2, off
.LBB9_841:
	s_mov_b64 s[6:7], 0
.LBB9_842:
	s_andn2_b64 vcc, exec, s[6:7]
	s_cbranch_vccnz .LBB9_844
; %bb.843:
	v_cvt_i32_f64_e32 v2, v[0:1]
	global_store_short v[4:5], v2, off
.LBB9_844:
	s_mov_b64 s[6:7], 0
.LBB9_845:
	s_andn2_b64 vcc, exec, s[6:7]
	s_cbranch_vccnz .LBB9_850
; %bb.846:
	s_cmp_gt_i32 s8, 0
	s_mov_b64 s[6:7], -1
	s_cbranch_scc0 .LBB9_848
; %bb.847:
	v_cvt_i32_f64_e32 v2, v[0:1]
	s_mov_b64 s[6:7], 0
	global_store_byte v[4:5], v2, off
.LBB9_848:
	s_andn2_b64 vcc, exec, s[6:7]
	s_cbranch_vccnz .LBB9_850
; %bb.849:
	v_trunc_f64_e32 v[0:1], v[0:1]
	s_movk_i32 s6, 0xffe0
	v_ldexp_f64 v[2:3], v[0:1], s6
	v_floor_f64_e32 v[2:3], v[2:3]
	v_fmac_f64_e32 v[0:1], 0xc1f00000, v[2:3]
	v_cvt_u32_f64_e32 v0, v[0:1]
	global_store_byte v[4:5], v0, off
.LBB9_850:
	s_mov_b64 s[6:7], -1
.LBB9_851:
	s_andn2_b64 vcc, exec, s[6:7]
	s_cbranch_vccnz .LBB9_853
; %bb.852:
	v_add_u32_e32 v10, 0x80, v10
	s_mov_b64 s[6:7], -1
	s_branch .LBB9_855
.LBB9_853:
	s_mov_b64 s[6:7], 0
.LBB9_854:
                                        ; implicit-def: $vgpr10
.LBB9_855:
	s_andn2_b64 s[8:9], s[62:63], exec
	s_and_b64 s[2:3], s[2:3], exec
	s_or_b64 s[68:69], s[8:9], s[2:3]
	s_andn2_b64 s[2:3], s[60:61], exec
	s_and_b64 s[4:5], s[4:5], exec
	s_or_b64 s[2:3], s[2:3], s[4:5]
	s_orn2_b64 s[6:7], s[6:7], exec
.LBB9_856:
	s_or_b64 exec, exec, s[66:67]
	s_mov_b64 s[4:5], 0
	s_mov_b64 s[10:11], 0
	;; [unrolled: 1-line block ×3, first 2 shown]
                                        ; implicit-def: $vgpr0_vgpr1
                                        ; implicit-def: $vgpr2
                                        ; implicit-def: $vgpr4_vgpr5
	s_and_saveexec_b64 s[66:67], s[6:7]
	s_cbranch_execz .LBB9_956
; %bb.857:
	v_cmp_gt_i32_e32 vcc, s70, v10
	s_mov_b64 s[6:7], 0
	s_mov_b64 s[12:13], s[2:3]
                                        ; implicit-def: $vgpr0_vgpr1
                                        ; implicit-def: $vgpr2
                                        ; implicit-def: $vgpr4_vgpr5
	s_and_saveexec_b64 s[70:71], vcc
	s_cbranch_execz .LBB9_955
; %bb.858:
	s_andn2_b64 vcc, exec, s[42:43]
	s_cbranch_vccnz .LBB9_864
; %bb.859:
	s_andn2_b64 vcc, exec, s[52:53]
	s_cbranch_vccnz .LBB9_865
; %bb.860:
	s_add_i32 s76, s75, 1
	s_cmp_eq_u32 s72, 2
	s_cbranch_scc1 .LBB9_866
; %bb.861:
	s_and_b32 s75, s76, 28
	s_mov_b32 s77, 0
	v_mov_b32_e32 v2, 0
	v_mov_b32_e32 v0, 0
	s_mov_b64 s[52:53], s[34:35]
	s_waitcnt vmcnt(0)
	v_mov_b32_e32 v4, v10
.LBB9_862:                              ; =>This Inner Loop Header: Depth=1
	s_load_dwordx8 s[12:19], s[52:53], 0x4
	s_load_dwordx4 s[36:39], s[52:53], 0x24
	s_load_dwordx8 s[4:11], s[50:51], 0x0
	s_add_u32 s52, s52, 48
	s_addc_u32 s53, s53, 0
	s_waitcnt lgkmcnt(0)
	v_mul_hi_u32 v1, s13, v4
	v_add_u32_e32 v1, v4, v1
	v_lshrrev_b32_e32 v1, s14, v1
	v_mul_lo_u32 v3, v1, s12
	v_mul_hi_u32 v5, s16, v1
	v_sub_u32_e32 v3, v4, v3
	v_add_u32_e32 v4, v1, v5
	v_lshrrev_b32_e32 v4, s17, v4
	v_mul_lo_u32 v6, v4, s15
	v_mul_hi_u32 v7, s19, v4
	v_sub_u32_e32 v1, v1, v6
	v_add_u32_e32 v6, v4, v7
	v_mul_lo_u32 v5, v3, s5
	v_mul_lo_u32 v3, v3, s4
	;; [unrolled: 1-line block ×4, first 2 shown]
	v_lshrrev_b32_e32 v6, s36, v6
	v_add3_u32 v1, v3, v2, v1
	v_mul_hi_u32 v3, s38, v6
	v_mul_lo_u32 v2, v6, s18
	v_add_u32_e32 v3, v6, v3
	v_sub_u32_e32 v2, v4, v2
	v_lshrrev_b32_e32 v4, s39, v3
	s_add_i32 s77, s77, 4
	v_mul_lo_u32 v3, v4, s37
	s_add_u32 s50, s50, 32
	v_sub_u32_e32 v3, v6, v3
	s_addc_u32 s51, s51, 0
	v_add3_u32 v0, v5, v0, v7
	v_mul_lo_u32 v5, v2, s8
	v_mul_lo_u32 v2, v2, s9
	;; [unrolled: 1-line block ×4, first 2 shown]
	s_cmp_eq_u32 s75, s77
	v_add3_u32 v0, v2, v0, v3
	v_add3_u32 v2, v5, v1, v6
	s_cbranch_scc0 .LBB9_862
; %bb.863:
	v_mov_b32_e32 v1, v0
	s_branch .LBB9_867
.LBB9_864:
	s_mov_b64 s[4:5], -1
                                        ; implicit-def: $vgpr0
                                        ; implicit-def: $vgpr2
	s_branch .LBB9_871
.LBB9_865:
	v_mov_b32_e32 v0, 0
	v_mov_b32_e32 v2, 0
	s_branch .LBB9_870
.LBB9_866:
	v_mov_b32_e32 v2, 0
	s_mov_b32 s75, 0
	v_mov_b32_e32 v1, v2
                                        ; implicit-def: $vgpr0
	s_waitcnt vmcnt(0)
	v_mov_b32_e32 v4, v10
.LBB9_867:
	s_and_b32 s8, s76, 3
	s_cmp_eq_u32 s8, 0
	s_cbranch_scc1 .LBB9_870
; %bb.868:
	s_lshl_b32 s4, s75, 3
	s_add_u32 s4, s34, s4
	s_addc_u32 s5, s35, 0
	s_add_u32 s4, s4, 0xc4
	s_addc_u32 s5, s5, 0
	s_mul_i32 s6, s75, 12
	s_add_u32 s6, s34, s6
	s_addc_u32 s7, s35, 0
.LBB9_869:                              ; =>This Inner Loop Header: Depth=1
	s_load_dwordx2 s[10:11], s[6:7], 0x4
	s_load_dword s9, s[6:7], 0xc
	s_load_dwordx2 s[12:13], s[4:5], 0x0
	v_mov_b32_e32 v0, v1
	s_add_u32 s6, s6, 12
	s_waitcnt lgkmcnt(0)
	v_mul_hi_u32 v1, s11, v4
	v_add_u32_e32 v1, v4, v1
	v_lshrrev_b32_e32 v1, s9, v1
	s_addc_u32 s7, s7, 0
	v_mul_lo_u32 v3, v1, s10
	s_add_u32 s4, s4, 8
	v_sub_u32_e32 v3, v4, v3
	s_addc_u32 s5, s5, 0
	s_add_i32 s8, s8, -1
	v_mov_b32_e32 v4, v1
	v_mad_u64_u32 v[0:1], s[10:11], v3, s13, v[0:1]
	s_cmp_lg_u32 s8, 0
	v_mad_u64_u32 v[2:3], s[10:11], v3, s12, v[2:3]
	v_mov_b32_e32 v1, v0
	s_cbranch_scc1 .LBB9_869
.LBB9_870:
	s_mov_b64 s[4:5], 0
.LBB9_871:
	s_andn2_b64 vcc, exec, s[4:5]
	s_cbranch_vccnz .LBB9_874
; %bb.872:
	s_waitcnt lgkmcnt(0)
	v_mul_hi_u32 v0, s29, v10
	v_add_u32_e32 v0, v10, v0
	v_lshrrev_b32_e32 v1, s30, v0
	v_mul_lo_u32 v0, v1, s28
	v_sub_u32_e32 v2, v10, v0
	v_mul_lo_u32 v0, v2, s25
	s_andn2_b64 vcc, exec, s[48:49]
	v_mul_lo_u32 v2, v2, s24
	s_cbranch_vccnz .LBB9_874
; %bb.873:
	v_mul_hi_u32 v3, s46, v1
	v_add_u32_e32 v3, v1, v3
	v_lshrrev_b32_e32 v3, s47, v3
	v_mul_lo_u32 v3, v3, s31
	v_sub_u32_e32 v1, v1, v3
	v_mad_u64_u32 v[2:3], s[4:5], v1, s26, v[2:3]
	v_mad_u64_u32 v[0:1], s[4:5], v1, s27, v[0:1]
.LBB9_874:
	v_mov_b32_e32 v1, 0
	s_and_b32 s14, 0xffff, s74
	s_cmp_lt_i32 s14, 11
	s_waitcnt lgkmcnt(0)
	v_lshl_add_u64 v[0:1], s[22:23], 0, v[0:1]
	s_cbranch_scc1 .LBB9_881
; %bb.875:
	s_cmp_gt_i32 s14, 25
	s_mov_b64 s[6:7], 0
	s_cbranch_scc0 .LBB9_882
; %bb.876:
	s_cmp_gt_i32 s14, 28
	s_cbranch_scc0 .LBB9_883
; %bb.877:
	s_cmp_gt_i32 s14, 43
	;; [unrolled: 3-line block ×3, first 2 shown]
	s_cbranch_scc0 .LBB9_887
; %bb.879:
	s_cmp_eq_u32 s14, 46
	s_mov_b64 s[10:11], 0
	s_cbranch_scc0 .LBB9_890
; %bb.880:
	global_load_dword v3, v[0:1], off
	s_mov_b64 s[4:5], 0
	s_mov_b64 s[8:9], -1
	s_waitcnt vmcnt(0)
	v_lshlrev_b32_e32 v3, 16, v3
	v_cvt_f64_f32_e32 v[4:5], v3
	s_branch .LBB9_891
.LBB9_881:
	s_mov_b64 s[10:11], -1
	s_mov_b64 s[8:9], 0
	s_mov_b64 s[6:7], 0
	;; [unrolled: 1-line block ×3, first 2 shown]
                                        ; implicit-def: $vgpr4_vgpr5
	s_branch .LBB9_954
.LBB9_882:
	s_mov_b64 s[10:11], -1
	s_mov_b64 s[8:9], 0
	s_mov_b64 s[4:5], s[2:3]
                                        ; implicit-def: $vgpr4_vgpr5
	s_branch .LBB9_922
.LBB9_883:
	s_mov_b64 s[10:11], -1
	s_mov_b64 s[8:9], 0
	s_mov_b64 s[4:5], s[2:3]
                                        ; implicit-def: $vgpr4_vgpr5
	s_branch .LBB9_901
.LBB9_884:
	s_mov_b64 s[10:11], -1
	s_mov_b64 s[8:9], 0
	s_mov_b64 s[4:5], s[2:3]
                                        ; implicit-def: $vgpr4_vgpr5
	s_branch .LBB9_896
.LBB9_885:
	s_andn2_saveexec_b64 s[10:11], s[10:11]
	s_cbranch_execz .LBB9_764
.LBB9_886:
	s_mov_b32 s14, 0x46000000
	v_add_f32_e64 v3, |v2|, s14
	v_and_b32_e32 v3, 0xff, v3
	v_cmp_ne_u32_e32 vcc, 0, v3
	s_andn2_b64 s[8:9], s[8:9], exec
	s_and_b64 s[14:15], vcc, exec
	s_or_b64 s[8:9], s[8:9], s[14:15]
	s_or_b64 exec, exec, s[10:11]
	v_mov_b32_e32 v6, 0
	s_and_saveexec_b64 s[10:11], s[8:9]
	s_cbranch_execnz .LBB9_765
	s_branch .LBB9_766
.LBB9_887:
	s_mov_b64 s[10:11], -1
	s_mov_b64 s[8:9], 0
	s_mov_b64 s[4:5], s[2:3]
                                        ; implicit-def: $vgpr4_vgpr5
	s_branch .LBB9_891
.LBB9_888:
	s_andn2_saveexec_b64 s[10:11], s[10:11]
	s_cbranch_execz .LBB9_777
.LBB9_889:
	s_mov_b32 s14, 0x42800000
	v_add_f32_e64 v3, |v2|, s14
	v_and_b32_e32 v3, 0xff, v3
	v_cmp_ne_u32_e32 vcc, 0, v3
	s_andn2_b64 s[8:9], s[8:9], exec
	s_and_b64 s[14:15], vcc, exec
	s_or_b64 s[8:9], s[8:9], s[14:15]
	s_or_b64 exec, exec, s[10:11]
	v_mov_b32_e32 v6, 0
	s_and_saveexec_b64 s[10:11], s[8:9]
	s_cbranch_execnz .LBB9_778
	s_branch .LBB9_779
.LBB9_890:
	s_mov_b64 s[4:5], -1
                                        ; implicit-def: $vgpr4_vgpr5
	s_mov_b64 s[8:9], 0
.LBB9_891:
	s_and_b64 vcc, exec, s[10:11]
	s_cbranch_vccz .LBB9_895
; %bb.892:
	s_cmp_eq_u32 s14, 44
	s_cbranch_scc0 .LBB9_894
; %bb.893:
	global_load_ubyte v3, v[0:1], off
	s_movk_i32 s8, 0xff
	v_bfrev_b32_e32 v6, 4
	v_mov_b32_e32 v7, 0x7ff80000
	v_bfrev_b32_e32 v8, 28
	s_mov_b64 s[4:5], 0
	s_waitcnt vmcnt(0)
	v_lshlrev_b32_e32 v4, 23, v3
	v_cvt_f64_f32_e32 v[4:5], v4
	v_cmp_ne_u32_e32 vcc, s8, v3
	s_mov_b64 s[8:9], -1
	s_nop 0
	v_cndmask_b32_e32 v4, v6, v4, vcc
	v_cndmask_b32_e32 v5, v7, v5, vcc
	v_cmp_ne_u32_e32 vcc, 0, v3
	s_nop 1
	v_cndmask_b32_e32 v5, v8, v5, vcc
	v_cndmask_b32_e32 v4, 0, v4, vcc
	s_branch .LBB9_895
.LBB9_894:
	s_mov_b64 s[4:5], -1
                                        ; implicit-def: $vgpr4_vgpr5
.LBB9_895:
	s_mov_b64 s[10:11], 0
.LBB9_896:
	s_and_b64 vcc, exec, s[10:11]
	s_cbranch_vccz .LBB9_900
; %bb.897:
	s_cmp_eq_u32 s14, 29
	s_cbranch_scc0 .LBB9_899
; %bb.898:
	global_load_dwordx2 v[4:5], v[0:1], off
	s_mov_b64 s[4:5], 0
	s_mov_b64 s[8:9], -1
	s_mov_b64 s[10:11], 0
	s_waitcnt vmcnt(0)
	v_cvt_f64_u32_e32 v[6:7], v5
	v_cvt_f64_u32_e32 v[4:5], v4
	v_ldexp_f64 v[6:7], v[6:7], 32
	v_add_f64 v[4:5], v[6:7], v[4:5]
	s_branch .LBB9_901
.LBB9_899:
	s_mov_b64 s[4:5], -1
                                        ; implicit-def: $vgpr4_vgpr5
.LBB9_900:
	s_mov_b64 s[10:11], 0
.LBB9_901:
	s_and_b64 vcc, exec, s[10:11]
	s_cbranch_vccz .LBB9_921
; %bb.902:
	s_cmp_lt_i32 s14, 27
	s_cbranch_scc1 .LBB9_905
; %bb.903:
	s_cmp_gt_i32 s14, 27
	s_cbranch_scc0 .LBB9_906
; %bb.904:
	global_load_dword v3, v[0:1], off
	s_mov_b64 s[8:9], 0
	s_waitcnt vmcnt(0)
	v_cvt_f64_u32_e32 v[4:5], v3
	s_branch .LBB9_907
.LBB9_905:
	s_mov_b64 s[8:9], -1
                                        ; implicit-def: $vgpr4_vgpr5
	s_branch .LBB9_910
.LBB9_906:
	s_mov_b64 s[8:9], -1
                                        ; implicit-def: $vgpr4_vgpr5
.LBB9_907:
	s_andn2_b64 vcc, exec, s[8:9]
	s_cbranch_vccnz .LBB9_909
; %bb.908:
	global_load_ushort v3, v[0:1], off
	s_waitcnt vmcnt(0)
	v_cvt_f64_u32_e32 v[4:5], v3
.LBB9_909:
	s_mov_b64 s[8:9], 0
.LBB9_910:
	s_andn2_b64 vcc, exec, s[8:9]
	s_cbranch_vccnz .LBB9_920
; %bb.911:
	global_load_ubyte v3, v[0:1], off
	s_movk_i32 s8, 0x7f
	s_waitcnt vmcnt(0)
	v_cmp_lt_i16_e32 vcc, s8, v3
	s_mov_b64 s[8:9], 0
	s_and_saveexec_b64 s[10:11], vcc
	s_xor_b64 s[10:11], exec, s[10:11]
	s_cbranch_execz .LBB9_915
; %bb.912:
	s_movk_i32 s8, 0x80
	v_cmp_eq_u16_e32 vcc, s8, v3
	s_mov_b64 s[8:9], -1
	s_and_saveexec_b64 s[12:13], vcc
; %bb.913:
	s_xor_b64 s[8:9], exec, -1
; %bb.914:
	s_or_b64 exec, exec, s[12:13]
	s_and_b64 s[8:9], s[8:9], exec
.LBB9_915:
	s_or_saveexec_b64 s[10:11], s[10:11]
	v_bfrev_b32_e32 v4, 4
	v_mov_b32_e32 v5, 0x7ff80000
	s_xor_b64 exec, exec, s[10:11]
; %bb.916:
	v_cmp_ne_u16_e32 vcc, 0, v3
	s_andn2_b64 s[8:9], s[8:9], exec
	s_and_b64 s[12:13], vcc, exec
	v_mov_b64_e32 v[4:5], 0
	s_or_b64 s[8:9], s[8:9], s[12:13]
; %bb.917:
	s_or_b64 exec, exec, s[10:11]
	s_and_saveexec_b64 s[10:11], s[8:9]
	s_cbranch_execz .LBB9_919
; %bb.918:
	v_lshlrev_b32_e32 v4, 24, v3
	v_and_b32_e32 v3, 0xffff, v3
	v_and_b32_e32 v5, 7, v3
	v_ffbh_u32_e32 v7, v5
	v_min_u32_e32 v7, 32, v7
	v_subrev_u32_e32 v8, 28, v7
	v_bfe_u32 v6, v3, 3, 4
	v_lshlrev_b32_e32 v3, v8, v3
	v_sub_u32_e32 v7, 29, v7
	v_and_b32_e32 v3, 7, v3
	v_cmp_eq_u32_e32 vcc, 0, v6
	v_and_b32_e32 v4, 0x80000000, v4
	s_nop 0
	v_cndmask_b32_e32 v6, v6, v7, vcc
	v_cndmask_b32_e32 v3, v5, v3, vcc
	v_mov_b32_e32 v5, 0x3b800000
	v_lshlrev_b32_e32 v3, 20, v3
	v_lshl_add_u32 v5, v6, 23, v5
	v_or3_b32 v3, v4, v5, v3
	v_cvt_f64_f32_e32 v[4:5], v3
.LBB9_919:
	s_or_b64 exec, exec, s[10:11]
.LBB9_920:
	s_mov_b64 s[8:9], -1
.LBB9_921:
	s_mov_b64 s[10:11], 0
.LBB9_922:
	s_and_b64 vcc, exec, s[10:11]
	s_cbranch_vccz .LBB9_953
; %bb.923:
	s_cmp_gt_i32 s14, 22
	s_cbranch_scc0 .LBB9_935
; %bb.924:
	s_cmp_lt_i32 s14, 24
	s_cbranch_scc1 .LBB9_936
; %bb.925:
	s_cmp_gt_i32 s14, 24
	s_cbranch_scc0 .LBB9_937
; %bb.926:
	global_load_ubyte v3, v[0:1], off
	s_movk_i32 s6, 0x7f
	s_waitcnt vmcnt(0)
	v_cmp_lt_i16_e32 vcc, s6, v3
	s_mov_b64 s[6:7], 0
	s_and_saveexec_b64 s[8:9], vcc
	s_xor_b64 s[8:9], exec, s[8:9]
	s_cbranch_execz .LBB9_930
; %bb.927:
	s_movk_i32 s6, 0x80
	v_cmp_eq_u16_e32 vcc, s6, v3
	s_mov_b64 s[6:7], -1
	s_and_saveexec_b64 s[10:11], vcc
; %bb.928:
	s_xor_b64 s[6:7], exec, -1
; %bb.929:
	s_or_b64 exec, exec, s[10:11]
	s_and_b64 s[6:7], s[6:7], exec
.LBB9_930:
	s_or_saveexec_b64 s[8:9], s[8:9]
	v_bfrev_b32_e32 v4, 4
	v_mov_b32_e32 v5, 0x7ff80000
	s_xor_b64 exec, exec, s[8:9]
; %bb.931:
	v_cmp_ne_u16_e32 vcc, 0, v3
	s_andn2_b64 s[6:7], s[6:7], exec
	s_and_b64 s[10:11], vcc, exec
	v_mov_b64_e32 v[4:5], 0
	s_or_b64 s[6:7], s[6:7], s[10:11]
; %bb.932:
	s_or_b64 exec, exec, s[8:9]
	s_and_saveexec_b64 s[8:9], s[6:7]
	s_cbranch_execz .LBB9_934
; %bb.933:
	v_lshlrev_b32_e32 v4, 24, v3
	v_and_b32_e32 v3, 0xffff, v3
	v_and_b32_e32 v5, 3, v3
	v_ffbh_u32_e32 v7, v5
	v_min_u32_e32 v7, 32, v7
	v_subrev_u32_e32 v8, 29, v7
	v_bfe_u32 v6, v3, 2, 5
	v_lshlrev_b32_e32 v3, v8, v3
	v_sub_u32_e32 v7, 30, v7
	v_and_b32_e32 v3, 3, v3
	v_cmp_eq_u32_e32 vcc, 0, v6
	v_and_b32_e32 v4, 0x80000000, v4
	s_nop 0
	v_cndmask_b32_e32 v6, v6, v7, vcc
	v_cndmask_b32_e32 v3, v5, v3, vcc
	v_mov_b32_e32 v5, 0x37800000
	v_lshlrev_b32_e32 v3, 21, v3
	v_lshl_add_u32 v5, v6, 23, v5
	v_or3_b32 v3, v4, v5, v3
	v_cvt_f64_f32_e32 v[4:5], v3
.LBB9_934:
	s_or_b64 exec, exec, s[8:9]
	s_mov_b64 s[6:7], 0
	s_branch .LBB9_938
.LBB9_935:
	s_mov_b64 s[6:7], -1
                                        ; implicit-def: $vgpr4_vgpr5
	s_branch .LBB9_944
.LBB9_936:
	s_mov_b64 s[6:7], -1
                                        ; implicit-def: $vgpr4_vgpr5
	s_branch .LBB9_941
.LBB9_937:
	s_mov_b64 s[6:7], -1
                                        ; implicit-def: $vgpr4_vgpr5
.LBB9_938:
	s_and_b64 vcc, exec, s[6:7]
	s_cbranch_vccz .LBB9_940
; %bb.939:
	global_load_ubyte v3, v[0:1], off
	s_mov_b32 s6, 0x7f800000
	s_waitcnt vmcnt(0)
	v_lshlrev_b32_e32 v3, 24, v3
	v_and_b32_e32 v4, 0x7f000000, v3
	v_ffbh_u32_e32 v5, v4
	v_min_u32_e32 v5, 32, v5
	v_sub_u32_e64 v5, v5, 4 clamp
	v_lshlrev_b32_e32 v7, v5, v4
	v_lshlrev_b32_e32 v5, 23, v5
	v_lshrrev_b32_e32 v7, 4, v7
	v_add_u32_e32 v6, 0x1000000, v4
	v_sub_u32_e32 v5, v7, v5
	v_ashrrev_i32_e32 v6, 8, v6
	v_add_u32_e32 v5, 0x3c000000, v5
	v_and_or_b32 v5, v6, s6, v5
	v_cmp_ne_u32_e32 vcc, 0, v4
	s_brev_b32 s6, 1
	s_nop 0
	v_cndmask_b32_e32 v4, 0, v5, vcc
	v_and_or_b32 v3, v3, s6, v4
	v_cvt_f64_f32_e32 v[4:5], v3
.LBB9_940:
	s_mov_b64 s[6:7], 0
.LBB9_941:
	s_andn2_b64 vcc, exec, s[6:7]
	s_cbranch_vccnz .LBB9_943
; %bb.942:
	global_load_ubyte v3, v[0:1], off
	s_movk_i32 s6, 0x7f00
	s_brev_b32 s7, 16
	s_waitcnt vmcnt(0)
	v_lshlrev_b16_e32 v4, 8, v3
	v_lshlrev_b32_e32 v3, 25, v3
	v_lshrrev_b32_e32 v5, 4, v3
	v_and_or_b32 v6, v4, s6, 0.5
	v_or_b32_e32 v5, 0x70000000, v5
	v_add_f32_e32 v6, -0.5, v6
	v_mul_f32_e32 v5, 0x7800000, v5
	v_cmp_gt_u32_e32 vcc, s7, v3
	v_bfe_i32 v4, v4, 0, 16
	s_brev_b32 s6, 1
	v_cndmask_b32_e32 v3, v5, v6, vcc
	v_and_or_b32 v3, v4, s6, v3
	v_cvt_f64_f32_e32 v[4:5], v3
.LBB9_943:
	s_mov_b64 s[6:7], 0
	s_mov_b64 s[8:9], -1
.LBB9_944:
	s_andn2_b64 vcc, exec, s[6:7]
	s_mov_b64 s[6:7], 0
	s_cbranch_vccnz .LBB9_953
; %bb.945:
	s_cmp_gt_i32 s14, 14
	s_cbranch_scc0 .LBB9_948
; %bb.946:
	s_cmp_eq_u32 s14, 15
	s_cbranch_scc0 .LBB9_949
; %bb.947:
	global_load_ushort v3, v[0:1], off
	s_mov_b64 s[4:5], 0
	s_mov_b64 s[8:9], -1
	s_waitcnt vmcnt(0)
	v_lshlrev_b32_e32 v3, 16, v3
	v_cvt_f64_f32_e32 v[4:5], v3
	s_branch .LBB9_950
.LBB9_948:
	s_mov_b64 s[10:11], -1
                                        ; implicit-def: $vgpr4_vgpr5
	s_branch .LBB9_951
.LBB9_949:
	s_mov_b64 s[4:5], -1
                                        ; implicit-def: $vgpr4_vgpr5
.LBB9_950:
	s_mov_b64 s[10:11], 0
.LBB9_951:
	s_and_b64 vcc, exec, s[10:11]
	s_cbranch_vccz .LBB9_953
; %bb.952:
	s_cmp_lg_u32 s14, 11
	s_cselect_b64 s[10:11], -1, 0
	s_andn2_b64 s[4:5], s[4:5], exec
	s_and_b64 s[10:11], s[10:11], exec
	s_mov_b64 s[6:7], -1
	s_or_b64 s[4:5], s[4:5], s[10:11]
.LBB9_953:
	s_mov_b64 s[10:11], 0
.LBB9_954:
	s_andn2_b64 s[12:13], s[2:3], exec
	s_and_b64 s[4:5], s[4:5], exec
	s_and_b64 s[8:9], s[8:9], exec
	;; [unrolled: 1-line block ×4, first 2 shown]
	s_or_b64 s[12:13], s[12:13], s[4:5]
.LBB9_955:
	s_or_b64 exec, exec, s[70:71]
	s_and_b64 s[4:5], s[6:7], exec
	s_andn2_b64 s[2:3], s[2:3], exec
	s_and_b64 s[6:7], s[12:13], exec
	s_and_b64 s[8:9], s[8:9], exec
	;; [unrolled: 1-line block ×3, first 2 shown]
	s_or_b64 s[2:3], s[2:3], s[6:7]
.LBB9_956:
	s_or_b64 exec, exec, s[66:67]
	s_andn2_b64 s[6:7], s[62:63], exec
	s_and_b64 s[12:13], s[68:69], exec
	s_or_b64 s[62:63], s[6:7], s[12:13]
	s_and_b64 s[6:7], s[10:11], exec
	s_andn2_b64 s[10:11], s[60:61], exec
	s_and_b64 s[2:3], s[2:3], exec
	s_and_b64 s[8:9], s[8:9], exec
	;; [unrolled: 1-line block ×3, first 2 shown]
	s_or_b64 s[60:61], s[10:11], s[2:3]
.LBB9_957:
	s_or_b64 exec, exec, s[64:65]
	s_andn2_b64 s[2:3], s[54:55], exec
	s_and_b64 s[10:11], s[62:63], exec
	s_or_b64 s[54:55], s[2:3], s[10:11]
	s_and_b64 s[2:3], s[8:9], exec
	s_and_b64 s[8:9], s[6:7], exec
	;; [unrolled: 1-line block ×3, first 2 shown]
	s_andn2_b64 s[4:5], s[56:57], exec
	s_and_b64 s[6:7], s[60:61], exec
	s_or_b64 s[56:57], s[4:5], s[6:7]
	s_or_b64 exec, exec, s[58:59]
	s_mov_b64 s[4:5], 0
	s_and_saveexec_b64 s[6:7], s[56:57]
	s_cbranch_execz .LBB9_288
.LBB9_958:
	s_mov_b64 s[4:5], exec
	s_andn2_b64 s[62:63], s[62:63], exec
	s_trap 2
	s_or_b64 exec, exec, s[6:7]
	s_and_saveexec_b64 s[6:7], s[62:63]
	s_xor_b64 s[6:7], exec, s[6:7]
	s_cbranch_execnz .LBB9_289
.LBB9_959:
	s_or_b64 exec, exec, s[6:7]
	s_and_saveexec_b64 s[6:7], s[8:9]
	s_cbranch_execz .LBB9_1005
.LBB9_960:
	s_sext_i32_i16 s8, s74
	s_cmp_lt_i32 s8, 5
	s_cbranch_scc1 .LBB9_965
; %bb.961:
	s_cmp_lt_i32 s8, 8
	s_cbranch_scc1 .LBB9_966
; %bb.962:
	;; [unrolled: 3-line block ×3, first 2 shown]
	s_cmp_gt_i32 s8, 9
	s_cbranch_scc0 .LBB9_968
; %bb.964:
	global_load_dwordx2 v[4:5], v[0:1], off
	s_mov_b64 s[8:9], 0
	s_branch .LBB9_969
.LBB9_965:
                                        ; implicit-def: $vgpr4_vgpr5
	s_branch .LBB9_986
.LBB9_966:
                                        ; implicit-def: $vgpr4_vgpr5
	s_branch .LBB9_975
.LBB9_967:
	s_mov_b64 s[8:9], -1
                                        ; implicit-def: $vgpr4_vgpr5
	s_branch .LBB9_972
.LBB9_968:
	s_mov_b64 s[8:9], -1
                                        ; implicit-def: $vgpr4_vgpr5
.LBB9_969:
	s_andn2_b64 vcc, exec, s[8:9]
	s_cbranch_vccnz .LBB9_971
; %bb.970:
	global_load_dword v3, v[0:1], off
	s_waitcnt vmcnt(0)
	v_cvt_f64_f32_e32 v[4:5], v3
.LBB9_971:
	s_mov_b64 s[8:9], 0
.LBB9_972:
	s_andn2_b64 vcc, exec, s[8:9]
	s_cbranch_vccnz .LBB9_974
; %bb.973:
	global_load_dword v3, v[0:1], off
	s_waitcnt vmcnt(0)
	v_cvt_f32_f16_e32 v3, v3
	v_cvt_f64_f32_e32 v[4:5], v3
.LBB9_974:
	s_cbranch_execnz .LBB9_985
.LBB9_975:
	s_sext_i32_i16 s8, s74
	s_cmp_lt_i32 s8, 6
	s_cbranch_scc1 .LBB9_978
; %bb.976:
	s_cmp_gt_i32 s8, 6
	s_cbranch_scc0 .LBB9_979
; %bb.977:
	global_load_dwordx2 v[4:5], v[0:1], off
	s_mov_b64 s[8:9], 0
	s_branch .LBB9_980
.LBB9_978:
	s_mov_b64 s[8:9], -1
                                        ; implicit-def: $vgpr4_vgpr5
	s_branch .LBB9_983
.LBB9_979:
	s_mov_b64 s[8:9], -1
                                        ; implicit-def: $vgpr4_vgpr5
.LBB9_980:
	s_andn2_b64 vcc, exec, s[8:9]
	s_cbranch_vccnz .LBB9_982
; %bb.981:
	global_load_dword v3, v[0:1], off
	s_waitcnt vmcnt(0)
	v_cvt_f64_f32_e32 v[4:5], v3
.LBB9_982:
	s_mov_b64 s[8:9], 0
.LBB9_983:
	s_andn2_b64 vcc, exec, s[8:9]
	s_cbranch_vccnz .LBB9_985
; %bb.984:
	global_load_ushort v3, v[0:1], off
	s_waitcnt vmcnt(0)
	v_cvt_f32_f16_e32 v3, v3
	v_cvt_f64_f32_e32 v[4:5], v3
.LBB9_985:
	s_cbranch_execnz .LBB9_1004
.LBB9_986:
	s_sext_i32_i16 s8, s74
	s_cmp_lt_i32 s8, 2
	s_cbranch_scc1 .LBB9_990
; %bb.987:
	s_cmp_lt_i32 s8, 3
	s_cbranch_scc1 .LBB9_991
; %bb.988:
	s_cmp_gt_i32 s8, 3
	s_cbranch_scc0 .LBB9_992
; %bb.989:
	global_load_dwordx2 v[4:5], v[0:1], off
	s_mov_b64 s[8:9], 0
	s_waitcnt vmcnt(0)
	v_cvt_f64_i32_e32 v[6:7], v5
	v_cvt_f64_u32_e32 v[4:5], v4
	v_ldexp_f64 v[6:7], v[6:7], 32
	v_add_f64 v[4:5], v[6:7], v[4:5]
	s_branch .LBB9_993
.LBB9_990:
                                        ; implicit-def: $vgpr4_vgpr5
	s_branch .LBB9_999
.LBB9_991:
	s_mov_b64 s[8:9], -1
                                        ; implicit-def: $vgpr4_vgpr5
	s_branch .LBB9_996
.LBB9_992:
	s_mov_b64 s[8:9], -1
                                        ; implicit-def: $vgpr4_vgpr5
.LBB9_993:
	s_andn2_b64 vcc, exec, s[8:9]
	s_cbranch_vccnz .LBB9_995
; %bb.994:
	global_load_dword v3, v[0:1], off
	s_waitcnt vmcnt(0)
	v_cvt_f64_i32_e32 v[4:5], v3
.LBB9_995:
	s_mov_b64 s[8:9], 0
.LBB9_996:
	s_andn2_b64 vcc, exec, s[8:9]
	s_cbranch_vccnz .LBB9_998
; %bb.997:
	global_load_sshort v3, v[0:1], off
	s_waitcnt vmcnt(0)
	v_cvt_f64_i32_e32 v[4:5], v3
.LBB9_998:
	s_cbranch_execnz .LBB9_1004
.LBB9_999:
	s_sext_i32_i16 s8, s74
	s_cmp_gt_i32 s8, 0
	s_cbranch_scc0 .LBB9_1001
; %bb.1000:
	global_load_sbyte v3, v[0:1], off
	s_mov_b64 s[8:9], 0
	s_waitcnt vmcnt(0)
	v_cvt_f64_i32_e32 v[4:5], v3
	s_branch .LBB9_1002
.LBB9_1001:
	s_mov_b64 s[8:9], -1
                                        ; implicit-def: $vgpr4_vgpr5
.LBB9_1002:
	s_andn2_b64 vcc, exec, s[8:9]
	s_cbranch_vccnz .LBB9_1004
; %bb.1003:
	global_load_ubyte v0, v[0:1], off
	s_waitcnt vmcnt(0)
	v_cvt_f64_u32_e32 v[4:5], v0
.LBB9_1004:
	s_or_b64 s[2:3], s[2:3], exec
.LBB9_1005:
	s_or_b64 exec, exec, s[6:7]
	s_mov_b64 s[10:11], 0
	s_mov_b64 s[8:9], 0
                                        ; implicit-def: $sgpr16
                                        ; implicit-def: $vgpr6_vgpr7
                                        ; implicit-def: $vgpr0_vgpr1
	s_and_saveexec_b64 s[6:7], s[2:3]
	s_cbranch_execz .LBB9_1092
; %bb.1006:
	s_mov_b32 s2, 0
	s_mov_b32 s3, 0x40200000
	s_waitcnt vmcnt(0)
	v_cmp_le_f64_e64 s[2:3], |v[4:5]|, s[2:3]
                                        ; implicit-def: $vgpr0_vgpr1
	s_and_saveexec_b64 s[8:9], s[2:3]
	s_xor_b64 s[2:3], exec, s[8:9]
	s_cbranch_execz .LBB9_1012
; %bb.1007:
	s_mov_b32 s8, 0xc3c4014
	v_fma_f64 v[0:1], |v[4:5]|, 0.5, -2.0
	v_mov_b32_e32 v6, 0xc38a0576
	v_mov_b32_e32 v7, 0xbc7857d0
	s_mov_b32 s9, 0x3c499f2a
	v_fmac_f64_e32 v[6:7], s[8:9], v[0:1]
	v_mov_b32_e32 v8, 0xc3c4014
	v_mov_b32_e32 v9, 0xbc499f2a
	s_mov_b32 s8, 0xe593bfac
	v_fmac_f64_e32 v[8:9], v[0:1], v[6:7]
	s_mov_b32 s9, 0x3ca663e3
	v_add_f64 v[8:9], v[8:9], s[8:9]
	s_mov_b32 s8, 0x7e0d1573
	v_fma_f64 v[6:7], v[0:1], v[8:9], -v[6:7]
	s_mov_b32 s9, 0xbcd3eaaa
	v_add_f64 v[6:7], v[6:7], s[8:9]
	s_mov_b32 s8, 0x615290c
	v_fma_f64 v[8:9], v[0:1], v[6:7], -v[8:9]
	;; [unrolled: 4-line block ×26, first 2 shown]
	s_mov_b32 s9, 0x3fd02a63
	v_add_f64 v[0:1], v[0:1], s[8:9]
	v_add_f64 v[0:1], v[0:1], -v[8:9]
	s_mov_b32 s8, 0x652b82fe
	v_mul_f64 v[0:1], v[0:1], 0.5
	s_mov_b32 s9, 0x3ff71547
	v_mul_f64 v[6:7], |v[4:5]|, v[0:1]
	v_mul_f64 v[0:1], |v[4:5]|, s[8:9]
	s_mov_b32 s8, 0xfefa39ef
	v_rndne_f64_e32 v[0:1], v[0:1]
	s_mov_b32 s9, 0xbfe62e42
	v_fma_f64 v[8:9], v[0:1], s[8:9], |v[4:5]|
	s_mov_b32 s8, 0x3b39803f
	s_mov_b32 s9, 0xbc7abc9e
	v_fmac_f64_e32 v[8:9], s[8:9], v[0:1]
	s_mov_b32 s8, 0x6a5dcb37
	v_mov_b32_e32 v10, 0xfca7ab0c
	v_mov_b32_e32 v11, 0x3e928af3
	s_mov_b32 s9, 0x3e5ade15
	v_fmac_f64_e32 v[10:11], s[8:9], v[8:9]
	v_mov_b32_e32 v12, 0x623fde64
	v_mov_b32_e32 v13, 0x3ec71dee
	v_fmac_f64_e32 v[12:13], v[8:9], v[10:11]
	v_mov_b32_e32 v10, 0x7c89e6b0
	v_mov_b32_e32 v11, 0x3efa0199
	;; [unrolled: 3-line block ×8, first 2 shown]
	v_fmac_f64_e32 v[10:11], v[8:9], v[12:13]
	v_fma_f64 v[10:11], v[8:9], v[10:11], 1.0
	v_cmp_ngt_f64_e32 vcc, 0, v[4:5]
	v_fma_f64 v[8:9], v[8:9], v[10:11], 1.0
	v_cvt_i32_f64_e32 v3, v[0:1]
                                        ; implicit-def: $vgpr0_vgpr1
	s_and_saveexec_b64 s[8:9], vcc
	s_xor_b64 s[8:9], exec, s[8:9]
; %bb.1008:
	s_mov_b32 s10, 0
	s_mov_b32 s11, 0x40900000
	v_ldexp_f64 v[0:1], v[8:9], v3
	v_mov_b32_e32 v3, 0x7ff00000
	v_cmp_ngt_f64_e64 vcc, |v[4:5]|, s[10:11]
                                        ; implicit-def: $vgpr8_vgpr9
                                        ; implicit-def: $vgpr4_vgpr5
	s_nop 1
	v_cndmask_b32_e32 v1, v3, v1, vcc
	v_cndmask_b32_e32 v0, 0, v0, vcc
	v_mul_f64 v[0:1], v[0:1], v[6:7]
                                        ; implicit-def: $vgpr3
                                        ; implicit-def: $vgpr6_vgpr7
; %bb.1009:
	s_andn2_saveexec_b64 s[8:9], s[8:9]
; %bb.1010:
	s_mov_b32 s10, 0
	s_mov_b32 s11, 0x40900000
	v_ldexp_f64 v[0:1], -v[8:9], v3
	v_mov_b32_e32 v3, 0xfff00000
	v_cmp_ngt_f64_e64 vcc, |v[4:5]|, s[10:11]
	s_nop 1
	v_cndmask_b32_e32 v1, v3, v1, vcc
	v_cndmask_b32_e32 v0, 0, v0, vcc
	v_mul_f64 v[0:1], v[0:1], v[6:7]
; %bb.1011:
	s_or_b64 exec, exec, s[8:9]
                                        ; implicit-def: $vgpr4_vgpr5
.LBB9_1012:
	s_andn2_saveexec_b64 s[8:9], s[2:3]
	s_cbranch_execz .LBB9_1018
; %bb.1013:
	s_mov_b32 s2, 0
	v_and_b32_e32 v1, 0x7fffffff, v5
	v_mov_b32_e32 v0, v4
	s_mov_b32 s3, 0x40400000
	v_div_scale_f64 v[6:7], s[10:11], v[0:1], v[0:1], s[2:3]
	v_rcp_f64_e32 v[8:9], v[6:7]
	v_div_scale_f64 v[0:1], vcc, s[2:3], v[0:1], s[2:3]
	v_mov_b32_e32 v12, 0xfca7ab0c
	v_fma_f64 v[10:11], -v[6:7], v[8:9], 1.0
	v_fmac_f64_e32 v[8:9], v[8:9], v[10:11]
	v_fma_f64 v[10:11], -v[6:7], v[8:9], 1.0
	v_fmac_f64_e32 v[8:9], v[8:9], v[10:11]
	v_mul_f64 v[10:11], v[0:1], v[8:9]
	v_fma_f64 v[0:1], -v[6:7], v[10:11], v[0:1]
	v_div_fmas_f64 v[0:1], v[0:1], v[8:9], v[10:11]
	v_div_fixup_f64 v[0:1], v[0:1], |v[4:5]|, s[2:3]
	s_mov_b32 s2, 0xb352e8e6
	v_add_f64 v[0:1], v[0:1], -2.0
	v_mov_b32_e32 v6, 0xea87b950
	v_mov_b32_e32 v7, 0x3c545b8a
	s_mov_b32 s3, 0x3c61556d
	v_fmac_f64_e32 v[6:7], s[2:3], v[0:1]
	v_mov_b32_e32 v8, 0xb352e8e6
	v_mov_b32_e32 v9, 0xbc61556d
	s_mov_b32 s2, 0xb2532277
	v_fmac_f64_e32 v[8:9], v[0:1], v[6:7]
	s_mov_b32 s3, 0xbc8acea3
	v_add_f64 v[8:9], v[8:9], s[2:3]
	s_mov_b32 s2, 0x9c773320
	v_fma_f64 v[6:7], v[0:1], v[8:9], -v[6:7]
	s_mov_b32 s3, 0xbc82806c
	v_add_f64 v[6:7], v[6:7], s[2:3]
	s_mov_b32 s2, 0xfceb588a
	v_fma_f64 v[8:9], v[0:1], v[6:7], -v[8:9]
	;; [unrolled: 4-line block ×22, first 2 shown]
	s_mov_b32 s3, 0x3fe8ea18
	v_add_f64 v[0:1], v[0:1], s[2:3]
	s_mov_b32 s2, 0x652b82fe
	s_mov_b32 s3, 0x3ff71547
	v_mul_f64 v[6:7], |v[4:5]|, s[2:3]
	s_mov_b32 s2, 0xfefa39ef
	v_rndne_f64_e32 v[6:7], v[6:7]
	s_mov_b32 s3, 0xbfe62e42
	v_fma_f64 v[10:11], v[6:7], s[2:3], |v[4:5]|
	s_mov_b32 s2, 0x3b39803f
	s_mov_b32 s3, 0xbc7abc9e
	v_fmac_f64_e32 v[10:11], s[2:3], v[6:7]
	s_mov_b32 s2, 0x6a5dcb37
	v_mov_b32_e32 v13, 0x3e928af3
	s_mov_b32 s3, 0x3e5ade15
	v_fmac_f64_e32 v[12:13], s[2:3], v[10:11]
	v_mov_b32_e32 v14, 0x623fde64
	v_mov_b32_e32 v15, 0x3ec71dee
	v_fmac_f64_e32 v[14:15], v[10:11], v[12:13]
	v_mov_b32_e32 v12, 0x7c89e6b0
	v_mov_b32_e32 v13, 0x3efa0199
	;; [unrolled: 3-line block ×8, first 2 shown]
	v_fmac_f64_e32 v[12:13], v[10:11], v[14:15]
	v_fma_f64 v[12:13], v[10:11], v[12:13], 1.0
	s_mov_b32 s2, 0
	v_fma_f64 v[10:11], v[10:11], v[12:13], 1.0
	v_cvt_i32_f64_e32 v3, v[6:7]
	s_mov_b32 s3, 0x40900000
	v_ldexp_f64 v[6:7], v[10:11], v3
	v_mov_b32_e32 v3, 0x7ff00000
	v_cmp_ngt_f64_e64 s[2:3], |v[4:5]|, s[2:3]
	v_cmp_ngt_f64_e32 vcc, 0, v[4:5]
	v_add_f64 v[8:9], v[0:1], -v[8:9]
	v_cndmask_b32_e64 v7, v3, v7, s[2:3]
	v_cndmask_b32_e64 v6, 0, v6, s[2:3]
                                        ; implicit-def: $vgpr0_vgpr1
	s_and_saveexec_b64 s[2:3], vcc
	s_xor_b64 s[2:3], exec, s[2:3]
	s_cbranch_execz .LBB9_1015
; %bb.1014:
	s_mov_b32 s10, 0
	s_brev_b32 s11, 8
	v_mov_b32_e32 v0, 0x100
	v_cmp_lt_f64_e64 vcc, |v[4:5]|, s[10:11]
	v_mul_f64 v[8:9], v[8:9], 0.5
	v_mul_f64 v[6:7], v[6:7], v[8:9]
	v_cndmask_b32_e32 v0, 0, v0, vcc
	v_ldexp_f64 v[0:1], |v[4:5]|, v0
	v_rsq_f64_e32 v[4:5], v[0:1]
	v_mov_b32_e32 v3, 0xffffff80
	v_cndmask_b32_e32 v3, 0, v3, vcc
	v_mul_f64 v[8:9], v[0:1], v[4:5]
	v_mul_f64 v[4:5], v[4:5], 0.5
	v_fma_f64 v[10:11], -v[4:5], v[8:9], 0.5
	v_fmac_f64_e32 v[8:9], v[8:9], v[10:11]
	v_fma_f64 v[12:13], -v[8:9], v[8:9], v[0:1]
	v_fmac_f64_e32 v[4:5], v[4:5], v[10:11]
	v_fmac_f64_e32 v[8:9], v[12:13], v[4:5]
	v_fma_f64 v[10:11], -v[8:9], v[8:9], v[0:1]
	v_fmac_f64_e32 v[8:9], v[10:11], v[4:5]
	v_ldexp_f64 v[4:5], v[8:9], v3
	v_mov_b32_e32 v3, 0x260
	v_cmp_class_f64_e32 vcc, v[0:1], v3
	s_nop 1
	v_cndmask_b32_e32 v1, v5, v1, vcc
	v_cndmask_b32_e32 v0, v4, v0, vcc
	v_div_scale_f64 v[4:5], s[10:11], v[0:1], v[0:1], v[6:7]
	v_rcp_f64_e32 v[8:9], v[4:5]
	s_nop 0
	v_fma_f64 v[10:11], -v[4:5], v[8:9], 1.0
	v_fmac_f64_e32 v[8:9], v[8:9], v[10:11]
	v_fma_f64 v[10:11], -v[4:5], v[8:9], 1.0
	v_fmac_f64_e32 v[8:9], v[8:9], v[10:11]
	v_div_scale_f64 v[10:11], vcc, v[6:7], v[0:1], v[6:7]
	v_mul_f64 v[12:13], v[10:11], v[8:9]
	v_fma_f64 v[4:5], -v[4:5], v[12:13], v[10:11]
	s_nop 1
	v_div_fmas_f64 v[4:5], v[4:5], v[8:9], v[12:13]
	v_div_fixup_f64 v[0:1], v[4:5], v[0:1], v[6:7]
                                        ; implicit-def: $vgpr4_vgpr5
                                        ; implicit-def: $vgpr8_vgpr9
                                        ; implicit-def: $vgpr6_vgpr7
.LBB9_1015:
	s_andn2_saveexec_b64 s[2:3], s[2:3]
	s_cbranch_execz .LBB9_1017
; %bb.1016:
	s_mov_b32 s10, 0
	s_brev_b32 s11, 8
	v_mov_b32_e32 v0, 0x100
	v_cmp_lt_f64_e64 vcc, |v[4:5]|, s[10:11]
	v_mov_b32_e32 v3, 0xffffff80
	s_nop 0
	v_cndmask_b32_e32 v0, 0, v0, vcc
	v_ldexp_f64 v[0:1], |v[4:5]|, v0
	v_rsq_f64_e32 v[4:5], v[0:1]
	v_cndmask_b32_e32 v3, 0, v3, vcc
	v_mul_f64 v[10:11], v[0:1], v[4:5]
	v_mul_f64 v[4:5], v[4:5], 0.5
	v_fma_f64 v[12:13], -v[4:5], v[10:11], 0.5
	v_fmac_f64_e32 v[10:11], v[10:11], v[12:13]
	v_fma_f64 v[14:15], -v[10:11], v[10:11], v[0:1]
	v_fmac_f64_e32 v[4:5], v[4:5], v[12:13]
	v_fmac_f64_e32 v[10:11], v[14:15], v[4:5]
	v_fma_f64 v[12:13], -v[10:11], v[10:11], v[0:1]
	v_fmac_f64_e32 v[10:11], v[12:13], v[4:5]
	v_ldexp_f64 v[4:5], v[10:11], v3
	v_mov_b32_e32 v3, 0x260
	v_cmp_class_f64_e32 vcc, v[0:1], v3
	s_nop 1
	v_cndmask_b32_e32 v1, v5, v1, vcc
	v_cndmask_b32_e32 v0, v4, v0, vcc
	v_mul_f64 v[4:5], v[8:9], -0.5
	v_mul_f64 v[4:5], v[6:7], v[4:5]
	v_div_scale_f64 v[6:7], s[10:11], v[0:1], v[0:1], v[4:5]
	v_rcp_f64_e32 v[8:9], v[6:7]
	s_nop 0
	v_fma_f64 v[10:11], -v[6:7], v[8:9], 1.0
	v_fmac_f64_e32 v[8:9], v[8:9], v[10:11]
	v_fma_f64 v[10:11], -v[6:7], v[8:9], 1.0
	v_fmac_f64_e32 v[8:9], v[8:9], v[10:11]
	v_div_scale_f64 v[10:11], vcc, v[4:5], v[0:1], v[4:5]
	v_mul_f64 v[12:13], v[10:11], v[8:9]
	v_fma_f64 v[6:7], -v[6:7], v[12:13], v[10:11]
	s_nop 1
	v_div_fmas_f64 v[6:7], v[6:7], v[8:9], v[12:13]
	v_div_fixup_f64 v[0:1], v[6:7], v[0:1], v[4:5]
.LBB9_1017:
	s_or_b64 exec, exec, s[2:3]
.LBB9_1018:
	s_or_b64 exec, exec, s[8:9]
	v_mov_b32_e32 v3, 0
	s_and_b32 s16, s73, 0xff
	s_cmp_lt_i32 s16, 11
	s_waitcnt lgkmcnt(0)
	v_lshl_add_u64 v[6:7], s[20:21], 0, v[2:3]
	s_cbranch_scc1 .LBB9_1095
; %bb.1019:
	s_and_b32 s17, 0xffff, s16
	s_mov_b64 s[10:11], -1
	s_cmp_gt_i32 s17, 25
	s_mov_b64 s[2:3], s[54:55]
	s_cbranch_scc0 .LBB9_1052
; %bb.1020:
	s_mov_b64 s[8:9], -1
	s_cmp_gt_i32 s17, 28
	s_mov_b64 s[2:3], s[54:55]
	s_cbranch_scc0 .LBB9_1036
; %bb.1021:
	s_cmp_gt_i32 s17, 43
	s_mov_b64 s[2:3], s[54:55]
	s_cbranch_scc0 .LBB9_1032
; %bb.1022:
	s_cmp_gt_i32 s17, 45
	s_mov_b64 s[2:3], s[54:55]
	s_cbranch_scc0 .LBB9_1026
; %bb.1023:
	s_cmp_eq_u32 s17, 46
	s_mov_b64 s[2:3], -1
	s_cbranch_scc0 .LBB9_1025
; %bb.1024:
	v_cvt_f32_f64_e32 v2, v[0:1]
	v_bfe_u32 v3, v2, 16, 1
	s_movk_i32 s2, 0x7fff
	v_add3_u32 v3, v2, v3, s2
	v_cmp_o_f32_e32 vcc, v2, v2
	v_mov_b32_e32 v2, 0x7fc0
	s_mov_b64 s[2:3], 0
	v_cndmask_b32_sdwa v2, v2, v3, vcc dst_sel:DWORD dst_unused:UNUSED_PAD src0_sel:DWORD src1_sel:WORD_1
	global_store_dword v[6:7], v2, off
.LBB9_1025:
	s_mov_b64 s[8:9], 0
.LBB9_1026:
	s_and_b64 vcc, exec, s[8:9]
	s_cbranch_vccz .LBB9_1031
; %bb.1027:
	s_cmp_eq_u32 s17, 44
	s_mov_b64 s[2:3], -1
	s_cbranch_scc0 .LBB9_1031
; %bb.1028:
	v_cvt_f32_f64_e32 v2, v[0:1]
	v_bfe_u32 v3, v2, 23, 8
	s_movk_i32 s2, 0xff
	v_cmp_ne_u32_e32 vcc, s2, v3
	v_mov_b32_e32 v4, 0xff
	s_and_saveexec_b64 s[8:9], vcc
; %bb.1029:
	s_mov_b32 s2, 0x3fffff
	v_lshrrev_b32_e32 v4, 23, v2
	v_and_b32_e32 v5, 0x400000, v2
	v_and_or_b32 v2, v2, s2, v3
	v_cmp_ne_u32_e32 vcc, 0, v5
	v_cmp_ne_u32_e64 s[2:3], 0, v2
	s_and_b64 s[2:3], vcc, s[2:3]
	s_nop 0
	v_cndmask_b32_e64 v2, 0, 1, s[2:3]
	v_add_u32_e32 v4, v4, v2
; %bb.1030:
	s_or_b64 exec, exec, s[8:9]
	s_mov_b64 s[2:3], 0
	global_store_byte v[6:7], v4, off
.LBB9_1031:
	s_mov_b64 s[8:9], 0
.LBB9_1032:
	s_and_b64 vcc, exec, s[8:9]
	s_cbranch_vccz .LBB9_1035
; %bb.1033:
	s_cmp_eq_u32 s17, 29
	s_mov_b64 s[2:3], -1
	s_cbranch_scc0 .LBB9_1035
; %bb.1034:
	v_trunc_f64_e32 v[2:3], v[0:1]
	s_movk_i32 s2, 0xffe0
	v_ldexp_f64 v[4:5], v[2:3], s2
	v_floor_f64_e32 v[4:5], v[4:5]
	v_fmac_f64_e32 v[2:3], 0xc1f00000, v[4:5]
	v_cvt_u32_f64_e32 v9, v[4:5]
	v_cvt_u32_f64_e32 v8, v[2:3]
	global_store_dwordx2 v[6:7], v[8:9], off
	s_mov_b64 s[2:3], 0
.LBB9_1035:
	s_mov_b64 s[8:9], 0
.LBB9_1036:
	s_and_b64 vcc, exec, s[8:9]
	s_cbranch_vccz .LBB9_1051
; %bb.1037:
	s_cmp_lt_i32 s17, 27
	s_mov_b64 s[8:9], -1
	s_cbranch_scc1 .LBB9_1043
; %bb.1038:
	s_cmp_gt_i32 s17, 27
	s_cbranch_scc0 .LBB9_1040
; %bb.1039:
	v_cvt_u32_f64_e32 v2, v[0:1]
	s_mov_b64 s[8:9], 0
	global_store_dword v[6:7], v2, off
.LBB9_1040:
	s_andn2_b64 vcc, exec, s[8:9]
	s_cbranch_vccnz .LBB9_1042
; %bb.1041:
	v_cvt_u32_f64_e32 v2, v[0:1]
	global_store_short v[6:7], v2, off
.LBB9_1042:
	s_mov_b64 s[8:9], 0
.LBB9_1043:
	s_andn2_b64 vcc, exec, s[8:9]
	s_cbranch_vccnz .LBB9_1051
; %bb.1044:
	v_cvt_f32_f64_e32 v2, v[0:1]
	v_and_b32_e32 v3, 0x7fffffff, v2
	s_mov_b32 s8, 0x43800000
	v_cmp_gt_u32_e32 vcc, s8, v3
	v_mov_b32_e32 v4, 0x80
	s_and_saveexec_b64 s[8:9], vcc
	s_cbranch_execz .LBB9_1050
; %bb.1045:
	s_mov_b32 s10, 0x3bffffff
	v_cmp_lt_u32_e32 vcc, s10, v3
	s_mov_b64 s[10:11], 0
                                        ; implicit-def: $vgpr3
	s_and_saveexec_b64 s[12:13], vcc
	s_xor_b64 s[12:13], exec, s[12:13]
	s_cbranch_execz .LBB9_1208
; %bb.1046:
	v_bfe_u32 v3, v2, 20, 1
	s_mov_b32 s14, 0x487ffff
	v_add3_u32 v3, v2, v3, s14
	s_mov_b64 s[10:11], exec
	v_lshrrev_b32_e32 v3, 20, v3
	s_andn2_saveexec_b64 s[12:13], s[12:13]
	s_cbranch_execnz .LBB9_1209
.LBB9_1047:
	s_or_b64 exec, exec, s[12:13]
	v_mov_b32_e32 v4, 0
	s_and_saveexec_b64 s[12:13], s[10:11]
.LBB9_1048:
	v_lshrrev_b32_e32 v2, 24, v2
	s_movk_i32 s10, 0x80
	v_and_or_b32 v4, v2, s10, v3
.LBB9_1049:
	s_or_b64 exec, exec, s[12:13]
.LBB9_1050:
	s_or_b64 exec, exec, s[8:9]
	global_store_byte v[6:7], v4, off
.LBB9_1051:
	s_mov_b64 s[10:11], 0
.LBB9_1052:
	s_mov_b64 s[8:9], 0
	s_and_b64 vcc, exec, s[10:11]
	s_cbranch_vccz .LBB9_1096
; %bb.1053:
	s_cmp_gt_i32 s17, 22
	s_mov_b64 s[10:11], -1
	s_cbranch_scc0 .LBB9_1085
; %bb.1054:
	s_cmp_lt_i32 s17, 24
	s_cbranch_scc1 .LBB9_1074
; %bb.1055:
	s_cmp_gt_i32 s17, 24
	s_cbranch_scc0 .LBB9_1063
; %bb.1056:
	v_cvt_f32_f64_e32 v2, v[0:1]
	v_and_b32_e32 v3, 0x7fffffff, v2
	s_mov_b32 s10, 0x47800000
	v_cmp_gt_u32_e32 vcc, s10, v3
	v_mov_b32_e32 v4, 0x80
	s_and_saveexec_b64 s[10:11], vcc
	s_cbranch_execz .LBB9_1062
; %bb.1057:
	s_mov_b32 s12, 0x37ffffff
	v_cmp_lt_u32_e32 vcc, s12, v3
	s_mov_b64 s[12:13], 0
                                        ; implicit-def: $vgpr3
	s_and_saveexec_b64 s[14:15], vcc
	s_xor_b64 s[14:15], exec, s[14:15]
	s_cbranch_execz .LBB9_1345
; %bb.1058:
	v_bfe_u32 v3, v2, 21, 1
	s_mov_b32 s18, 0x88fffff
	v_add3_u32 v3, v2, v3, s18
	s_mov_b64 s[12:13], exec
	v_lshrrev_b32_e32 v3, 21, v3
	s_andn2_saveexec_b64 s[14:15], s[14:15]
	s_cbranch_execnz .LBB9_1346
.LBB9_1059:
	s_or_b64 exec, exec, s[14:15]
	v_mov_b32_e32 v4, 0
	s_and_saveexec_b64 s[14:15], s[12:13]
.LBB9_1060:
	v_lshrrev_b32_e32 v2, 24, v2
	s_movk_i32 s12, 0x80
	v_and_or_b32 v4, v2, s12, v3
.LBB9_1061:
	s_or_b64 exec, exec, s[14:15]
.LBB9_1062:
	s_or_b64 exec, exec, s[10:11]
	s_mov_b64 s[10:11], 0
	global_store_byte v[6:7], v4, off
.LBB9_1063:
	s_and_b64 vcc, exec, s[10:11]
	s_cbranch_vccz .LBB9_1073
; %bb.1064:
	v_cvt_f32_f64_e32 v2, v[0:1]
	v_and_b32_e32 v4, 0x7fffffff, v2
	s_mov_b32 s10, 0x43f00000
	v_cmp_gt_u32_e32 vcc, s10, v4
                                        ; implicit-def: $vgpr3
	s_and_saveexec_b64 s[10:11], vcc
	s_xor_b64 s[10:11], exec, s[10:11]
	s_cbranch_execz .LBB9_1070
; %bb.1065:
	s_mov_b32 s12, 0x3c7fffff
	v_cmp_lt_u32_e32 vcc, s12, v4
                                        ; implicit-def: $vgpr3
	s_and_saveexec_b64 s[12:13], vcc
	s_xor_b64 s[12:13], exec, s[12:13]
; %bb.1066:
	v_bfe_u32 v3, v2, 20, 1
	s_mov_b32 s14, 0x407ffff
	v_add3_u32 v3, v2, v3, s14
	v_lshrrev_b32_e32 v4, 20, v3
	v_and_b32_e32 v3, 0xff00000, v3
	s_mov_b32 s14, 0x7f00000
	v_mov_b32_e32 v5, 0x7e
	v_cmp_ne_u32_e32 vcc, s14, v3
	s_nop 1
	v_cndmask_b32_e32 v3, v5, v4, vcc
; %bb.1067:
	s_andn2_saveexec_b64 s[12:13], s[12:13]
; %bb.1068:
	s_mov_b32 s14, 0x46800000
	v_add_f32_e64 v3, |v2|, s14
; %bb.1069:
	s_or_b64 exec, exec, s[12:13]
                                        ; implicit-def: $vgpr4
.LBB9_1070:
	s_andn2_saveexec_b64 s[10:11], s[10:11]
; %bb.1071:
	s_mov_b32 s12, 0x7f800000
	v_mov_b32_e32 v3, 0x7e
	v_mov_b32_e32 v5, 0x7f
	v_cmp_lt_u32_e32 vcc, s12, v4
	s_nop 1
	v_cndmask_b32_e32 v3, v3, v5, vcc
; %bb.1072:
	s_or_b64 exec, exec, s[10:11]
	v_lshrrev_b32_e32 v2, 24, v2
	s_movk_i32 s10, 0x80
	v_and_or_b32 v2, v2, s10, v3
	global_store_byte v[6:7], v2, off
.LBB9_1073:
	s_mov_b64 s[10:11], 0
.LBB9_1074:
	s_andn2_b64 vcc, exec, s[10:11]
	s_cbranch_vccnz .LBB9_1084
; %bb.1075:
	v_cvt_f32_f64_e32 v2, v[0:1]
	v_and_b32_e32 v4, 0x7fffffff, v2
	s_mov_b32 s10, 0x47800000
	v_cmp_gt_u32_e32 vcc, s10, v4
                                        ; implicit-def: $vgpr3
	s_and_saveexec_b64 s[10:11], vcc
	s_xor_b64 s[10:11], exec, s[10:11]
	s_cbranch_execz .LBB9_1081
; %bb.1076:
	s_mov_b32 s12, 0x387fffff
	v_cmp_lt_u32_e32 vcc, s12, v4
                                        ; implicit-def: $vgpr3
	s_and_saveexec_b64 s[12:13], vcc
	s_xor_b64 s[12:13], exec, s[12:13]
; %bb.1077:
	v_bfe_u32 v3, v2, 21, 1
	s_mov_b32 s14, 0x80fffff
	v_add3_u32 v3, v2, v3, s14
	v_lshrrev_b32_e32 v3, 21, v3
; %bb.1078:
	s_andn2_saveexec_b64 s[12:13], s[12:13]
; %bb.1079:
	s_mov_b32 s14, 0x43000000
	v_add_f32_e64 v3, |v2|, s14
; %bb.1080:
	s_or_b64 exec, exec, s[12:13]
                                        ; implicit-def: $vgpr4
.LBB9_1081:
	s_andn2_saveexec_b64 s[10:11], s[10:11]
; %bb.1082:
	s_mov_b32 s12, 0x7f800000
	v_mov_b32_e32 v3, 0x7c
	v_mov_b32_e32 v5, 0x7f
	v_cmp_lt_u32_e32 vcc, s12, v4
	s_nop 1
	v_cndmask_b32_e32 v3, v3, v5, vcc
; %bb.1083:
	s_or_b64 exec, exec, s[10:11]
	v_lshrrev_b32_e32 v2, 24, v2
	s_movk_i32 s10, 0x80
	v_and_or_b32 v2, v2, s10, v3
	global_store_byte v[6:7], v2, off
.LBB9_1084:
	s_mov_b64 s[10:11], 0
.LBB9_1085:
	s_andn2_b64 vcc, exec, s[10:11]
	s_mov_b64 s[10:11], 0
	s_cbranch_vccnz .LBB9_1097
; %bb.1086:
	s_cmp_gt_i32 s17, 14
	s_mov_b64 s[12:13], -1
	s_cbranch_scc0 .LBB9_1090
; %bb.1087:
	s_cmp_eq_u32 s17, 15
	s_mov_b64 s[2:3], -1
	s_cbranch_scc0 .LBB9_1089
; %bb.1088:
	v_cvt_f32_f64_e32 v2, v[0:1]
	v_bfe_u32 v3, v2, 16, 1
	s_movk_i32 s2, 0x7fff
	v_add3_u32 v3, v2, v3, s2
	v_cmp_o_f32_e32 vcc, v2, v2
	v_mov_b32_e32 v2, 0x7fc0
	s_mov_b64 s[2:3], 0
	v_cndmask_b32_sdwa v2, v2, v3, vcc dst_sel:DWORD dst_unused:UNUSED_PAD src0_sel:DWORD src1_sel:WORD_1
	global_store_short v[6:7], v2, off
.LBB9_1089:
	s_mov_b64 s[12:13], 0
.LBB9_1090:
	s_and_b64 vcc, exec, s[12:13]
	s_cbranch_vccz .LBB9_1097
; %bb.1091:
	s_cmp_lg_u32 s17, 11
	s_cselect_b64 s[12:13], -1, 0
	s_andn2_b64 s[2:3], s[2:3], exec
	s_and_b64 s[12:13], s[12:13], exec
	s_mov_b64 s[10:11], -1
	s_or_b64 s[2:3], s[2:3], s[12:13]
	s_branch .LBB9_1097
.LBB9_1092:
	s_or_b64 exec, exec, s[6:7]
	s_and_saveexec_b64 s[2:3], s[54:55]
	s_cbranch_execnz .LBB9_1098
.LBB9_1093:
	s_or_b64 exec, exec, s[2:3]
	s_and_saveexec_b64 s[2:3], s[10:11]
	s_xor_b64 s[2:3], exec, s[2:3]
	s_cbranch_execz .LBB9_1099
.LBB9_1094:
	v_cmp_neq_f64_e32 vcc, 0, v[0:1]
	s_nop 1
	v_cndmask_b32_e64 v2, 0, 1, vcc
	global_store_byte v[6:7], v2, off
	s_or_b64 exec, exec, s[2:3]
	s_and_saveexec_b64 s[2:3], s[8:9]
	s_xor_b64 s[2:3], exec, s[2:3]
	s_cbranch_execz .LBB9_1137
	s_branch .LBB9_1100
.LBB9_1095:
	s_mov_b64 s[10:11], 0
	s_mov_b64 s[8:9], -1
	s_mov_b64 s[2:3], s[54:55]
	s_branch .LBB9_1097
.LBB9_1096:
	s_mov_b64 s[10:11], 0
.LBB9_1097:
	s_andn2_b64 s[12:13], s[54:55], exec
	s_and_b64 s[2:3], s[2:3], exec
	s_and_b64 s[8:9], s[8:9], exec
	;; [unrolled: 1-line block ×3, first 2 shown]
	s_or_b64 s[54:55], s[12:13], s[2:3]
	s_or_b64 exec, exec, s[6:7]
	s_and_saveexec_b64 s[2:3], s[54:55]
	s_cbranch_execz .LBB9_1093
.LBB9_1098:
	s_or_b64 s[4:5], s[4:5], exec
	s_andn2_b64 s[10:11], s[10:11], exec
	s_trap 2
	s_or_b64 exec, exec, s[2:3]
	s_and_saveexec_b64 s[2:3], s[10:11]
	s_xor_b64 s[2:3], exec, s[2:3]
	s_cbranch_execnz .LBB9_1094
.LBB9_1099:
	s_or_b64 exec, exec, s[2:3]
	s_and_saveexec_b64 s[2:3], s[8:9]
	s_xor_b64 s[2:3], exec, s[2:3]
	s_cbranch_execz .LBB9_1137
.LBB9_1100:
	s_sext_i32_i16 s8, s16
	s_cmp_lt_i32 s8, 5
	s_mov_b64 s[6:7], -1
	s_cbranch_scc1 .LBB9_1121
; %bb.1101:
	s_cmp_lt_i32 s8, 8
	s_cbranch_scc1 .LBB9_1111
; %bb.1102:
	s_cmp_lt_i32 s8, 9
	s_cbranch_scc1 .LBB9_1108
; %bb.1103:
	s_cmp_gt_i32 s8, 9
	s_cbranch_scc0 .LBB9_1105
; %bb.1104:
	v_mov_b32_e32 v2, 0
	v_mov_b32_e32 v3, v2
	s_mov_b64 s[6:7], 0
	global_store_dwordx4 v[6:7], v[0:3], off
.LBB9_1105:
	s_andn2_b64 vcc, exec, s[6:7]
	s_cbranch_vccnz .LBB9_1107
; %bb.1106:
	v_cvt_f32_f64_e32 v2, v[0:1]
	v_mov_b32_e32 v3, 0
	global_store_dwordx2 v[6:7], v[2:3], off
.LBB9_1107:
	s_mov_b64 s[6:7], 0
.LBB9_1108:
	s_andn2_b64 vcc, exec, s[6:7]
	s_cbranch_vccnz .LBB9_1110
; %bb.1109:
	s_movk_i32 s6, 0x1ff
	v_and_or_b32 v2, v1, s6, v0
	v_cmp_ne_u32_e32 vcc, 0, v2
	v_lshrrev_b32_e32 v3, 8, v1
	s_movk_i32 s6, 0xffe
	v_cndmask_b32_e64 v2, 0, 1, vcc
	s_waitcnt vmcnt(0)
	v_bfe_u32 v4, v1, 20, 11
	v_and_or_b32 v2, v3, s6, v2
	v_sub_u32_e32 v5, 0x3f1, v4
	v_or_b32_e32 v3, 0x1000, v2
	v_med3_i32 v5, v5, 0, 13
	v_lshrrev_b32_e32 v8, v5, v3
	v_lshlrev_b32_e32 v5, v5, v8
	v_cmp_ne_u32_e32 vcc, v5, v3
	v_add_u32_e32 v4, 0xfffffc10, v4
	v_lshl_or_b32 v5, v4, 12, v2
	v_cndmask_b32_e64 v3, 0, 1, vcc
	v_or_b32_e32 v3, v8, v3
	v_cmp_gt_i32_e32 vcc, 1, v4
	s_movk_i32 s6, 0x40f
	s_nop 0
	v_cndmask_b32_e32 v3, v5, v3, vcc
	v_and_b32_e32 v5, 7, v3
	v_cmp_lt_i32_e32 vcc, 5, v5
	v_lshrrev_b32_e32 v3, 2, v3
	s_nop 0
	v_cndmask_b32_e64 v8, 0, 1, vcc
	v_cmp_eq_u32_e32 vcc, 3, v5
	s_nop 1
	v_cndmask_b32_e64 v5, 0, 1, vcc
	v_or_b32_e32 v5, v5, v8
	v_add_u32_e32 v3, v3, v5
	v_mov_b32_e32 v5, 0x7c00
	v_cmp_gt_i32_e32 vcc, 31, v4
	v_mov_b32_e32 v8, 0x7e00
	s_nop 0
	v_cndmask_b32_e32 v3, v5, v3, vcc
	v_cmp_ne_u32_e32 vcc, 0, v2
	s_nop 1
	v_cndmask_b32_e32 v2, v5, v8, vcc
	v_cmp_eq_u32_e32 vcc, s6, v4
	s_mov_b32 s6, 0x8000
	s_nop 0
	v_cndmask_b32_e32 v2, v3, v2, vcc
	v_and_b32_sdwa v3, v1, s6 dst_sel:DWORD dst_unused:UNUSED_PAD src0_sel:WORD_1 src1_sel:DWORD
	s_mov_b32 s6, 0xffff
	v_bitop3_b32 v2, v3, s6, v2 bitop3:0xc8
	global_store_dword v[6:7], v2, off
.LBB9_1110:
	s_mov_b64 s[6:7], 0
.LBB9_1111:
	s_andn2_b64 vcc, exec, s[6:7]
	s_cbranch_vccnz .LBB9_1120
; %bb.1112:
	s_sext_i32_i16 s8, s16
	s_cmp_lt_i32 s8, 6
	s_mov_b64 s[6:7], -1
	s_cbranch_scc1 .LBB9_1118
; %bb.1113:
	s_cmp_gt_i32 s8, 6
	s_cbranch_scc0 .LBB9_1115
; %bb.1114:
	s_mov_b64 s[6:7], 0
	global_store_dwordx2 v[6:7], v[0:1], off
.LBB9_1115:
	s_andn2_b64 vcc, exec, s[6:7]
	s_cbranch_vccnz .LBB9_1117
; %bb.1116:
	v_cvt_f32_f64_e32 v2, v[0:1]
	global_store_dword v[6:7], v2, off
.LBB9_1117:
	s_mov_b64 s[6:7], 0
.LBB9_1118:
	s_andn2_b64 vcc, exec, s[6:7]
	s_cbranch_vccnz .LBB9_1120
; %bb.1119:
	s_movk_i32 s6, 0x1ff
	v_and_or_b32 v2, v1, s6, v0
	v_cmp_ne_u32_e32 vcc, 0, v2
	v_lshrrev_b32_e32 v3, 8, v1
	s_movk_i32 s6, 0xffe
	v_cndmask_b32_e64 v2, 0, 1, vcc
	s_waitcnt vmcnt(0)
	v_bfe_u32 v4, v1, 20, 11
	v_and_or_b32 v2, v3, s6, v2
	v_sub_u32_e32 v5, 0x3f1, v4
	v_or_b32_e32 v3, 0x1000, v2
	v_med3_i32 v5, v5, 0, 13
	v_lshrrev_b32_e32 v8, v5, v3
	v_lshlrev_b32_e32 v5, v5, v8
	v_cmp_ne_u32_e32 vcc, v5, v3
	v_add_u32_e32 v4, 0xfffffc10, v4
	v_lshl_or_b32 v5, v4, 12, v2
	v_cndmask_b32_e64 v3, 0, 1, vcc
	v_or_b32_e32 v3, v8, v3
	v_cmp_gt_i32_e32 vcc, 1, v4
	s_movk_i32 s6, 0x40f
	s_nop 0
	v_cndmask_b32_e32 v3, v5, v3, vcc
	v_and_b32_e32 v5, 7, v3
	v_cmp_lt_i32_e32 vcc, 5, v5
	v_lshrrev_b32_e32 v3, 2, v3
	s_nop 0
	v_cndmask_b32_e64 v8, 0, 1, vcc
	v_cmp_eq_u32_e32 vcc, 3, v5
	s_nop 1
	v_cndmask_b32_e64 v5, 0, 1, vcc
	v_or_b32_e32 v5, v5, v8
	v_add_u32_e32 v3, v3, v5
	v_mov_b32_e32 v5, 0x7c00
	v_cmp_gt_i32_e32 vcc, 31, v4
	v_mov_b32_e32 v8, 0x7e00
	s_nop 0
	v_cndmask_b32_e32 v3, v5, v3, vcc
	v_cmp_ne_u32_e32 vcc, 0, v2
	s_nop 1
	v_cndmask_b32_e32 v2, v5, v8, vcc
	v_cmp_eq_u32_e32 vcc, s6, v4
	s_mov_b32 s6, 0x8000
	s_nop 0
	v_cndmask_b32_e32 v2, v3, v2, vcc
	v_lshrrev_b32_e32 v3, 16, v1
	v_and_or_b32 v2, v3, s6, v2
	global_store_short v[6:7], v2, off
.LBB9_1120:
	s_mov_b64 s[6:7], 0
.LBB9_1121:
	s_andn2_b64 vcc, exec, s[6:7]
	s_cbranch_vccnz .LBB9_1137
; %bb.1122:
	s_sext_i32_i16 s8, s16
	s_cmp_lt_i32 s8, 2
	s_mov_b64 s[6:7], -1
	s_cbranch_scc1 .LBB9_1132
; %bb.1123:
	s_cmp_lt_i32 s8, 3
	s_cbranch_scc1 .LBB9_1129
; %bb.1124:
	s_cmp_gt_i32 s8, 3
	s_cbranch_scc0 .LBB9_1126
; %bb.1125:
	v_trunc_f64_e32 v[2:3], v[0:1]
	s_movk_i32 s6, 0xffe0
	s_waitcnt vmcnt(0)
	v_ldexp_f64 v[4:5], v[2:3], s6
	v_floor_f64_e32 v[4:5], v[4:5]
	v_fmac_f64_e32 v[2:3], 0xc1f00000, v[4:5]
	v_cvt_i32_f64_e32 v9, v[4:5]
	v_cvt_u32_f64_e32 v8, v[2:3]
	s_mov_b64 s[6:7], 0
	global_store_dwordx2 v[6:7], v[8:9], off
.LBB9_1126:
	s_andn2_b64 vcc, exec, s[6:7]
	s_cbranch_vccnz .LBB9_1128
; %bb.1127:
	v_cvt_i32_f64_e32 v2, v[0:1]
	global_store_dword v[6:7], v2, off
.LBB9_1128:
	s_mov_b64 s[6:7], 0
.LBB9_1129:
	s_andn2_b64 vcc, exec, s[6:7]
	s_cbranch_vccnz .LBB9_1131
; %bb.1130:
	v_cvt_i32_f64_e32 v2, v[0:1]
	global_store_short v[6:7], v2, off
.LBB9_1131:
	s_mov_b64 s[6:7], 0
.LBB9_1132:
	s_andn2_b64 vcc, exec, s[6:7]
	s_cbranch_vccnz .LBB9_1137
; %bb.1133:
	s_sext_i32_i16 s6, s16
	s_cmp_gt_i32 s6, 0
	s_mov_b64 s[6:7], -1
	s_cbranch_scc0 .LBB9_1135
; %bb.1134:
	v_cvt_i32_f64_e32 v2, v[0:1]
	s_mov_b64 s[6:7], 0
	global_store_byte v[6:7], v2, off
.LBB9_1135:
	s_andn2_b64 vcc, exec, s[6:7]
	s_cbranch_vccnz .LBB9_1137
; %bb.1136:
	v_trunc_f64_e32 v[0:1], v[0:1]
	s_movk_i32 s6, 0xffe0
	v_ldexp_f64 v[2:3], v[0:1], s6
	v_floor_f64_e32 v[2:3], v[2:3]
	v_fmac_f64_e32 v[0:1], 0xc1f00000, v[2:3]
	v_cvt_u32_f64_e32 v0, v[0:1]
	global_store_byte v[6:7], v0, off
.LBB9_1137:
	s_or_b64 exec, exec, s[2:3]
	s_waitcnt lgkmcnt(0)
	s_and_b64 s[24:25], s[4:5], exec
                                        ; implicit-def: $vgpr16
                                        ; implicit-def: $vgpr10
.LBB9_1138:
	s_or_saveexec_b64 s[26:27], s[44:45]
	s_mov_b64 s[6:7], 0
                                        ; implicit-def: $vgpr0_vgpr1
                                        ; implicit-def: $sgpr14
                                        ; implicit-def: $vgpr12_vgpr13
	s_xor_b64 exec, exec, s[26:27]
	s_cbranch_execz .LBB9_1836
; %bb.1139:
	v_cndmask_b32_e64 v0, 0, 1, s[42:43]
	v_cmp_ne_u32_e64 s[2:3], 1, v0
	s_andn2_b64 vcc, exec, s[42:43]
	s_cbranch_vccnz .LBB9_1145
; %bb.1140:
	s_cmp_lg_u32 s33, 0
	s_mov_b32 s36, 0
	s_cbranch_scc0 .LBB9_1146
; %bb.1141:
	s_min_u32 s37, s72, 15
	s_add_i32 s37, s37, 1
	s_cmp_eq_u32 s72, 2
	s_cbranch_scc1 .LBB9_1147
; %bb.1142:
	s_and_b32 s36, s37, 28
	s_add_u32 s28, s34, 0xc4
	s_addc_u32 s29, s35, 0
	s_mov_b32 s38, 0
	v_mov_b32_e32 v2, 0
	v_mov_b32_e32 v0, 0
	s_mov_b64 s[30:31], s[34:35]
	s_waitcnt vmcnt(0)
	v_mov_b32_e32 v4, v10
.LBB9_1143:                             ; =>This Inner Loop Header: Depth=1
	s_load_dwordx8 s[12:19], s[30:31], 0x4
	s_load_dwordx4 s[20:23], s[30:31], 0x24
	s_load_dwordx8 s[4:11], s[28:29], 0x0
	s_add_u32 s30, s30, 48
	s_addc_u32 s31, s31, 0
	s_waitcnt lgkmcnt(0)
	v_mul_hi_u32 v1, s13, v4
	v_add_u32_e32 v1, v4, v1
	v_lshrrev_b32_e32 v1, s14, v1
	v_mul_lo_u32 v3, v1, s12
	v_mul_hi_u32 v5, s16, v1
	v_sub_u32_e32 v3, v4, v3
	v_add_u32_e32 v4, v1, v5
	v_lshrrev_b32_e32 v4, s17, v4
	v_mul_lo_u32 v6, v4, s15
	v_mul_hi_u32 v7, s19, v4
	v_sub_u32_e32 v1, v1, v6
	v_add_u32_e32 v6, v4, v7
	v_mul_lo_u32 v5, v3, s5
	v_mul_lo_u32 v3, v3, s4
	;; [unrolled: 1-line block ×4, first 2 shown]
	v_lshrrev_b32_e32 v6, s20, v6
	v_add3_u32 v1, v3, v2, v1
	v_mul_hi_u32 v3, s22, v6
	v_mul_lo_u32 v2, v6, s18
	v_add_u32_e32 v3, v6, v3
	v_sub_u32_e32 v2, v4, v2
	v_lshrrev_b32_e32 v4, s23, v3
	s_add_i32 s38, s38, 4
	v_mul_lo_u32 v3, v4, s21
	s_add_u32 s28, s28, 32
	v_sub_u32_e32 v3, v6, v3
	s_addc_u32 s29, s29, 0
	v_add3_u32 v0, v5, v0, v7
	v_mul_lo_u32 v5, v2, s8
	v_mul_lo_u32 v2, v2, s9
	;; [unrolled: 1-line block ×4, first 2 shown]
	s_cmp_lg_u32 s36, s38
	v_add3_u32 v0, v2, v0, v3
	v_add3_u32 v2, v5, v1, v6
	s_cbranch_scc1 .LBB9_1143
; %bb.1144:
	v_mov_b32_e32 v1, v0
	s_and_b32 s8, s37, 3
	s_cmp_eq_u32 s8, 0
	s_cbranch_scc0 .LBB9_1148
	s_branch .LBB9_1150
.LBB9_1145:
                                        ; implicit-def: $vgpr0
                                        ; implicit-def: $vgpr2
	s_branch .LBB9_1151
.LBB9_1146:
	v_mov_b32_e32 v0, 0
	v_mov_b32_e32 v2, 0
	s_branch .LBB9_1150
.LBB9_1147:
	v_mov_b32_e32 v2, 0
                                        ; implicit-def: $vgpr0
	v_mov_b32_e32 v1, v2
	s_waitcnt vmcnt(0)
	v_mov_b32_e32 v4, v10
	s_and_b32 s8, s37, 3
	s_cmp_eq_u32 s8, 0
	s_cbranch_scc1 .LBB9_1150
.LBB9_1148:
	s_lshl_b32 s4, s36, 3
	s_add_u32 s4, s34, s4
	s_addc_u32 s5, s35, 0
	s_add_u32 s4, s4, 0xc4
	s_addc_u32 s5, s5, 0
	s_mul_i32 s6, s36, 12
	s_add_u32 s6, s34, s6
	s_addc_u32 s7, s35, 0
.LBB9_1149:                             ; =>This Inner Loop Header: Depth=1
	s_load_dwordx2 s[10:11], s[6:7], 0x4
	s_load_dword s9, s[6:7], 0xc
	s_load_dwordx2 s[12:13], s[4:5], 0x0
	v_mov_b32_e32 v0, v1
	s_add_u32 s6, s6, 12
	s_waitcnt lgkmcnt(0)
	v_mul_hi_u32 v1, s11, v4
	v_add_u32_e32 v1, v4, v1
	v_lshrrev_b32_e32 v1, s9, v1
	s_addc_u32 s7, s7, 0
	v_mul_lo_u32 v3, v1, s10
	s_add_u32 s4, s4, 8
	v_sub_u32_e32 v3, v4, v3
	s_addc_u32 s5, s5, 0
	s_add_i32 s8, s8, -1
	v_mov_b32_e32 v4, v1
	v_mad_u64_u32 v[0:1], s[10:11], v3, s13, v[0:1]
	s_cmp_lg_u32 s8, 0
	v_mad_u64_u32 v[2:3], s[10:11], v3, s12, v[2:3]
	v_mov_b32_e32 v1, v0
	s_cbranch_scc1 .LBB9_1149
.LBB9_1150:
	s_cbranch_execnz .LBB9_1153
.LBB9_1151:
	s_load_dwordx4 s[4:7], s[34:35], 0x4
	s_load_dwordx2 s[8:9], s[34:35], 0xc4
	s_cmp_lt_u32 s33, 2
	s_waitcnt lgkmcnt(0)
	v_mul_hi_u32 v0, s5, v10
	v_add_u32_e32 v0, v10, v0
	v_lshrrev_b32_e32 v1, s6, v0
	v_mul_lo_u32 v0, v1, s4
	v_sub_u32_e32 v2, v10, v0
	v_mul_lo_u32 v0, v2, s9
	v_mul_lo_u32 v2, v2, s8
	s_cbranch_scc1 .LBB9_1153
; %bb.1152:
	s_load_dwordx4 s[4:7], s[34:35], 0x10
	s_load_dwordx2 s[8:9], s[34:35], 0xcc
	s_waitcnt lgkmcnt(0)
	v_mul_hi_u32 v3, s5, v1
	v_add_u32_e32 v3, v1, v3
	v_lshrrev_b32_e32 v3, s6, v3
	v_mul_lo_u32 v3, v3, s4
	v_sub_u32_e32 v1, v1, v3
	v_mad_u64_u32 v[2:3], s[4:5], v1, s8, v[2:3]
	v_mad_u64_u32 v[0:1], s[4:5], v1, s9, v[0:1]
.LBB9_1153:
	s_and_b64 vcc, exec, s[2:3]
	v_add_u32_e32 v3, 0x80, v10
	s_cbranch_vccnz .LBB9_1159
; %bb.1154:
	s_cmp_lg_u32 s33, 0
	s_mov_b32 s36, 0
	s_cbranch_scc0 .LBB9_1160
; %bb.1155:
	s_min_u32 s37, s72, 15
	s_add_i32 s37, s37, 1
	s_cmp_eq_u32 s72, 2
	s_cbranch_scc1 .LBB9_1161
; %bb.1156:
	s_and_b32 s36, s37, 28
	s_add_u32 s28, s34, 0xc4
	s_addc_u32 s29, s35, 0
	s_mov_b32 s38, 0
	v_mov_b32_e32 v6, 0
	s_waitcnt vmcnt(0)
	v_mov_b32_e32 v4, 0
	s_mov_b64 s[30:31], s[34:35]
	v_mov_b32_e32 v8, v3
.LBB9_1157:                             ; =>This Inner Loop Header: Depth=1
	s_load_dwordx8 s[12:19], s[30:31], 0x4
	s_load_dwordx4 s[20:23], s[30:31], 0x24
	s_load_dwordx8 s[4:11], s[28:29], 0x0
	s_add_u32 s30, s30, 48
	s_addc_u32 s31, s31, 0
	s_waitcnt lgkmcnt(0)
	v_mul_hi_u32 v1, s13, v8
	v_add_u32_e32 v1, v8, v1
	v_lshrrev_b32_e32 v1, s14, v1
	v_mul_hi_u32 v7, s16, v1
	v_add_u32_e32 v7, v1, v7
	v_lshrrev_b32_e32 v7, s17, v7
	v_mul_lo_u32 v5, v1, s12
	v_mul_lo_u32 v9, v7, s15
	v_mul_hi_u32 v11, s19, v7
	v_sub_u32_e32 v5, v8, v5
	v_sub_u32_e32 v1, v1, v9
	v_add_u32_e32 v9, v7, v11
	v_mul_lo_u32 v8, v5, s5
	v_mul_lo_u32 v5, v5, s4
	;; [unrolled: 1-line block ×4, first 2 shown]
	v_lshrrev_b32_e32 v9, s20, v9
	v_add3_u32 v1, v5, v6, v1
	v_mul_hi_u32 v6, s22, v9
	v_add_u32_e32 v6, v9, v6
	v_add3_u32 v4, v8, v4, v11
	v_lshrrev_b32_e32 v8, s23, v6
	s_add_i32 s38, s38, 4
	v_mul_lo_u32 v5, v9, s18
	v_mul_lo_u32 v6, v8, s21
	s_add_u32 s28, s28, 32
	v_sub_u32_e32 v5, v7, v5
	v_sub_u32_e32 v6, v9, v6
	s_addc_u32 s29, s29, 0
	v_mul_lo_u32 v7, v5, s8
	v_mul_lo_u32 v5, v5, s9
	v_mul_lo_u32 v9, v6, s10
	v_mul_lo_u32 v6, v6, s11
	s_cmp_lg_u32 s36, s38
	v_add3_u32 v4, v5, v4, v6
	v_add3_u32 v6, v7, v1, v9
	s_cbranch_scc1 .LBB9_1157
; %bb.1158:
	v_mov_b32_e32 v1, v4
	s_and_b32 s8, s37, 3
	s_cmp_eq_u32 s8, 0
	s_cbranch_scc0 .LBB9_1162
	s_branch .LBB9_1164
.LBB9_1159:
                                        ; implicit-def: $vgpr4
                                        ; implicit-def: $vgpr6
	s_branch .LBB9_1165
.LBB9_1160:
	s_waitcnt vmcnt(0)
	v_mov_b32_e32 v4, 0
	v_mov_b32_e32 v6, 0
	s_branch .LBB9_1164
.LBB9_1161:
	v_mov_b32_e32 v6, 0
                                        ; implicit-def: $vgpr4
	v_mov_b32_e32 v1, v6
	v_mov_b32_e32 v8, v3
	s_and_b32 s8, s37, 3
	s_cmp_eq_u32 s8, 0
	s_cbranch_scc1 .LBB9_1164
.LBB9_1162:
	s_lshl_b32 s4, s36, 3
	s_add_u32 s4, s34, s4
	s_addc_u32 s5, s35, 0
	s_add_u32 s4, s4, 0xc4
	s_addc_u32 s5, s5, 0
	s_mul_i32 s6, s36, 12
	s_add_u32 s6, s34, s6
	s_addc_u32 s7, s35, 0
.LBB9_1163:                             ; =>This Inner Loop Header: Depth=1
	s_load_dwordx2 s[10:11], s[6:7], 0x4
	s_load_dword s9, s[6:7], 0xc
	s_load_dwordx2 s[12:13], s[4:5], 0x0
	s_waitcnt vmcnt(0)
	v_mov_b32_e32 v4, v1
	s_add_u32 s6, s6, 12
	s_waitcnt lgkmcnt(0)
	v_mul_hi_u32 v1, s11, v8
	v_add_u32_e32 v1, v8, v1
	v_lshrrev_b32_e32 v1, s9, v1
	s_addc_u32 s7, s7, 0
	v_mul_lo_u32 v5, v1, s10
	s_add_u32 s4, s4, 8
	v_sub_u32_e32 v7, v8, v5
	s_addc_u32 s5, s5, 0
	s_add_i32 s8, s8, -1
	v_mad_u64_u32 v[4:5], s[10:11], v7, s13, v[4:5]
	s_cmp_lg_u32 s8, 0
	v_mov_b32_e32 v8, v1
	v_mad_u64_u32 v[6:7], s[10:11], v7, s12, v[6:7]
	v_mov_b32_e32 v1, v4
	s_cbranch_scc1 .LBB9_1163
.LBB9_1164:
	s_cbranch_execnz .LBB9_1167
.LBB9_1165:
	s_load_dwordx4 s[4:7], s[34:35], 0x4
	s_load_dwordx2 s[8:9], s[34:35], 0xc4
	s_cmp_lt_u32 s33, 2
	s_waitcnt lgkmcnt(0)
	v_mul_hi_u32 v1, s5, v3
	v_add_u32_e32 v1, v3, v1
	v_lshrrev_b32_e32 v1, s6, v1
	s_waitcnt vmcnt(0)
	v_mul_lo_u32 v4, v1, s4
	v_sub_u32_e32 v3, v3, v4
	v_mul_lo_u32 v4, v3, s9
	v_mul_lo_u32 v6, v3, s8
	s_cbranch_scc1 .LBB9_1167
; %bb.1166:
	s_load_dwordx4 s[4:7], s[34:35], 0x10
	s_load_dwordx2 s[8:9], s[34:35], 0xcc
	s_waitcnt lgkmcnt(0)
	v_mul_hi_u32 v3, s5, v1
	v_add_u32_e32 v3, v1, v3
	v_lshrrev_b32_e32 v3, s6, v3
	v_mul_lo_u32 v3, v3, s4
	v_sub_u32_e32 v1, v1, v3
	v_mad_u64_u32 v[6:7], s[4:5], v1, s8, v[6:7]
	v_mad_u64_u32 v[4:5], s[4:5], v1, s9, v[4:5]
.LBB9_1167:
	s_and_b64 vcc, exec, s[2:3]
	v_add_u32_e32 v3, 0x100, v10
	s_cbranch_vccnz .LBB9_1173
; %bb.1168:
	s_cmp_lg_u32 s33, 0
	s_mov_b32 s36, 0
	s_cbranch_scc0 .LBB9_1174
; %bb.1169:
	s_min_u32 s37, s72, 15
	s_add_i32 s37, s37, 1
	s_cmp_eq_u32 s72, 2
	s_cbranch_scc1 .LBB9_1175
; %bb.1170:
	s_and_b32 s36, s37, 28
	s_add_u32 s28, s34, 0xc4
	s_addc_u32 s29, s35, 0
	s_mov_b32 s38, 0
	v_mov_b32_e32 v10, 0
	v_mov_b32_e32 v8, 0
	s_mov_b64 s[30:31], s[34:35]
	s_waitcnt vmcnt(0)
	v_mov_b32_e32 v5, v3
.LBB9_1171:                             ; =>This Inner Loop Header: Depth=1
	s_load_dwordx8 s[12:19], s[30:31], 0x4
	s_load_dwordx4 s[20:23], s[30:31], 0x24
	s_load_dwordx8 s[4:11], s[28:29], 0x0
	s_add_u32 s30, s30, 48
	s_addc_u32 s31, s31, 0
	s_waitcnt lgkmcnt(0)
	v_mul_hi_u32 v1, s13, v5
	v_add_u32_e32 v1, v5, v1
	v_lshrrev_b32_e32 v1, s14, v1
	v_mul_lo_u32 v7, v1, s12
	v_mul_hi_u32 v9, s16, v1
	v_sub_u32_e32 v5, v5, v7
	v_add_u32_e32 v7, v1, v9
	v_lshrrev_b32_e32 v7, s17, v7
	v_mul_lo_u32 v11, v7, s15
	v_mul_hi_u32 v12, s19, v7
	v_sub_u32_e32 v1, v1, v11
	v_add_u32_e32 v11, v7, v12
	v_mul_lo_u32 v9, v5, s5
	v_mul_lo_u32 v5, v5, s4
	;; [unrolled: 1-line block ×4, first 2 shown]
	v_lshrrev_b32_e32 v11, s20, v11
	v_add3_u32 v1, v5, v10, v1
	v_add3_u32 v8, v9, v8, v12
	v_mul_lo_u32 v5, v11, s18
	v_mul_hi_u32 v9, s22, v11
	v_sub_u32_e32 v5, v7, v5
	v_add_u32_e32 v7, v11, v9
	v_mul_lo_u32 v9, v5, s8
	v_mul_lo_u32 v10, v5, s9
	v_lshrrev_b32_e32 v5, s23, v7
	s_add_i32 s38, s38, 4
	v_mul_lo_u32 v7, v5, s21
	s_add_u32 s28, s28, 32
	v_sub_u32_e32 v7, v11, v7
	s_addc_u32 s29, s29, 0
	v_mul_lo_u32 v11, v7, s10
	v_mul_lo_u32 v7, v7, s11
	s_cmp_lg_u32 s36, s38
	v_add3_u32 v8, v10, v8, v7
	v_add3_u32 v10, v9, v1, v11
	s_cbranch_scc1 .LBB9_1171
; %bb.1172:
	v_mov_b32_e32 v1, v8
	s_and_b32 s8, s37, 3
	s_cmp_eq_u32 s8, 0
	s_cbranch_scc0 .LBB9_1176
	s_branch .LBB9_1178
.LBB9_1173:
                                        ; implicit-def: $vgpr8
                                        ; implicit-def: $vgpr10
	s_branch .LBB9_1179
.LBB9_1174:
	v_mov_b32_e32 v8, 0
	v_mov_b32_e32 v10, 0
	s_branch .LBB9_1178
.LBB9_1175:
	v_mov_b32_e32 v10, 0
                                        ; implicit-def: $vgpr8
	v_mov_b32_e32 v1, v10
	s_waitcnt vmcnt(0)
	v_mov_b32_e32 v5, v3
	s_and_b32 s8, s37, 3
	s_cmp_eq_u32 s8, 0
	s_cbranch_scc1 .LBB9_1178
.LBB9_1176:
	s_lshl_b32 s4, s36, 3
	s_add_u32 s4, s34, s4
	s_addc_u32 s5, s35, 0
	s_add_u32 s4, s4, 0xc4
	s_addc_u32 s5, s5, 0
	s_mul_i32 s6, s36, 12
	s_add_u32 s6, s34, s6
	s_addc_u32 s7, s35, 0
.LBB9_1177:                             ; =>This Inner Loop Header: Depth=1
	s_load_dwordx2 s[10:11], s[6:7], 0x4
	s_load_dword s9, s[6:7], 0xc
	s_load_dwordx2 s[12:13], s[4:5], 0x0
	v_mov_b32_e32 v8, v1
	s_add_u32 s6, s6, 12
	s_waitcnt lgkmcnt(0)
	v_mul_hi_u32 v1, s11, v5
	v_add_u32_e32 v1, v5, v1
	v_lshrrev_b32_e32 v1, s9, v1
	s_addc_u32 s7, s7, 0
	v_mul_lo_u32 v7, v1, s10
	s_add_u32 s4, s4, 8
	v_sub_u32_e32 v7, v5, v7
	s_addc_u32 s5, s5, 0
	s_add_i32 s8, s8, -1
	v_mad_u64_u32 v[8:9], s[10:11], v7, s13, v[8:9]
	s_cmp_lg_u32 s8, 0
	v_mov_b32_e32 v5, v1
	v_mad_u64_u32 v[10:11], s[10:11], v7, s12, v[10:11]
	v_mov_b32_e32 v1, v8
	s_cbranch_scc1 .LBB9_1177
.LBB9_1178:
	s_cbranch_execnz .LBB9_1181
.LBB9_1179:
	s_load_dwordx4 s[4:7], s[34:35], 0x4
	s_load_dwordx2 s[8:9], s[34:35], 0xc4
	s_cmp_lt_u32 s33, 2
	s_waitcnt lgkmcnt(0)
	v_mul_hi_u32 v1, s5, v3
	v_add_u32_e32 v1, v3, v1
	v_lshrrev_b32_e32 v1, s6, v1
	s_waitcnt vmcnt(0)
	v_mul_lo_u32 v5, v1, s4
	v_sub_u32_e32 v3, v3, v5
	v_mul_lo_u32 v8, v3, s9
	v_mul_lo_u32 v10, v3, s8
	s_cbranch_scc1 .LBB9_1181
; %bb.1180:
	s_load_dwordx4 s[4:7], s[34:35], 0x10
	s_load_dwordx2 s[8:9], s[34:35], 0xcc
	s_waitcnt lgkmcnt(0)
	v_mul_hi_u32 v3, s5, v1
	v_add_u32_e32 v3, v1, v3
	v_lshrrev_b32_e32 v3, s6, v3
	v_mul_lo_u32 v3, v3, s4
	v_sub_u32_e32 v1, v1, v3
	v_mad_u64_u32 v[10:11], s[4:5], v1, s8, v[10:11]
	v_mad_u64_u32 v[8:9], s[4:5], v1, s9, v[8:9]
.LBB9_1181:
	s_and_b64 vcc, exec, s[2:3]
	s_cbranch_vccnz .LBB9_1187
; %bb.1182:
	s_cmp_lg_u32 s33, 0
	s_mov_b32 s30, 0
	s_cbranch_scc0 .LBB9_1188
; %bb.1183:
	s_min_u32 s31, s72, 15
	s_add_i32 s31, s31, 1
	s_cmp_eq_u32 s72, 2
	s_cbranch_scc1 .LBB9_1189
; %bb.1184:
	s_and_b32 s30, s31, 28
	s_add_u32 s2, s34, 0xc4
	s_addc_u32 s3, s35, 0
	s_mov_b32 s36, 0
	v_mov_b32_e32 v14, 0
	v_mov_b32_e32 v12, 0
	s_mov_b64 s[28:29], s[34:35]
	v_mov_b32_e32 v3, v16
.LBB9_1185:                             ; =>This Inner Loop Header: Depth=1
	s_load_dwordx8 s[12:19], s[28:29], 0x4
	s_load_dwordx4 s[20:23], s[28:29], 0x24
	s_load_dwordx8 s[4:11], s[2:3], 0x0
	s_add_u32 s28, s28, 48
	s_addc_u32 s29, s29, 0
	s_waitcnt lgkmcnt(0)
	v_mul_hi_u32 v1, s13, v3
	v_add_u32_e32 v1, v3, v1
	v_lshrrev_b32_e32 v1, s14, v1
	s_waitcnt vmcnt(0)
	v_mul_lo_u32 v5, v1, s12
	v_mul_hi_u32 v7, s16, v1
	v_sub_u32_e32 v3, v3, v5
	v_add_u32_e32 v5, v1, v7
	v_lshrrev_b32_e32 v5, s17, v5
	v_mul_lo_u32 v9, v5, s15
	v_mul_hi_u32 v11, s19, v5
	v_sub_u32_e32 v1, v1, v9
	v_add_u32_e32 v9, v5, v11
	v_mul_lo_u32 v7, v3, s5
	v_mul_lo_u32 v3, v3, s4
	;; [unrolled: 1-line block ×4, first 2 shown]
	v_lshrrev_b32_e32 v9, s20, v9
	v_add3_u32 v1, v3, v14, v1
	v_add3_u32 v7, v7, v12, v11
	v_mul_lo_u32 v3, v9, s18
	v_mul_hi_u32 v11, s22, v9
	v_sub_u32_e32 v3, v5, v3
	v_add_u32_e32 v5, v9, v11
	v_mul_lo_u32 v11, v3, s8
	v_mul_lo_u32 v12, v3, s9
	v_lshrrev_b32_e32 v3, s23, v5
	s_add_i32 s36, s36, 4
	v_mul_lo_u32 v5, v3, s21
	s_add_u32 s2, s2, 32
	v_sub_u32_e32 v5, v9, v5
	s_addc_u32 s3, s3, 0
	v_mul_lo_u32 v9, v5, s10
	v_mul_lo_u32 v5, v5, s11
	s_cmp_lg_u32 s30, s36
	v_add3_u32 v12, v12, v7, v5
	v_add3_u32 v14, v11, v1, v9
	s_cbranch_scc1 .LBB9_1185
; %bb.1186:
	v_mov_b32_e32 v1, v12
	s_and_b32 s6, s31, 3
	s_cmp_eq_u32 s6, 0
	s_cbranch_scc0 .LBB9_1190
	s_branch .LBB9_1192
.LBB9_1187:
                                        ; implicit-def: $vgpr12
                                        ; implicit-def: $vgpr14
	s_branch .LBB9_1193
.LBB9_1188:
	v_mov_b32_e32 v12, 0
	v_mov_b32_e32 v14, 0
	s_branch .LBB9_1192
.LBB9_1189:
	v_mov_b32_e32 v14, 0
                                        ; implicit-def: $vgpr12
	v_mov_b32_e32 v1, v14
	v_mov_b32_e32 v3, v16
	s_and_b32 s6, s31, 3
	s_cmp_eq_u32 s6, 0
	s_cbranch_scc1 .LBB9_1192
.LBB9_1190:
	s_lshl_b32 s2, s30, 3
	s_add_u32 s2, s34, s2
	s_addc_u32 s3, s35, 0
	s_add_u32 s2, s2, 0xc4
	s_addc_u32 s3, s3, 0
	s_mul_i32 s4, s30, 12
	s_add_u32 s4, s34, s4
	s_addc_u32 s5, s35, 0
.LBB9_1191:                             ; =>This Inner Loop Header: Depth=1
	s_load_dwordx2 s[8:9], s[4:5], 0x4
	s_load_dword s7, s[4:5], 0xc
	s_load_dwordx2 s[10:11], s[2:3], 0x0
	v_mov_b32_e32 v12, v1
	s_add_u32 s4, s4, 12
	s_waitcnt lgkmcnt(0)
	v_mul_hi_u32 v1, s9, v3
	v_add_u32_e32 v1, v3, v1
	v_lshrrev_b32_e32 v1, s7, v1
	s_addc_u32 s5, s5, 0
	s_waitcnt vmcnt(0)
	v_mul_lo_u32 v5, v1, s8
	s_add_u32 s2, s2, 8
	v_sub_u32_e32 v5, v3, v5
	s_addc_u32 s3, s3, 0
	s_add_i32 s6, s6, -1
	v_mad_u64_u32 v[12:13], s[8:9], v5, s11, v[12:13]
	s_cmp_lg_u32 s6, 0
	v_mov_b32_e32 v3, v1
	v_mad_u64_u32 v[14:15], s[8:9], v5, s10, v[14:15]
	v_mov_b32_e32 v1, v12
	s_cbranch_scc1 .LBB9_1191
.LBB9_1192:
	s_cbranch_execnz .LBB9_1195
.LBB9_1193:
	s_load_dwordx4 s[4:7], s[34:35], 0x4
	s_load_dwordx2 s[2:3], s[34:35], 0xc4
	s_cmp_lt_u32 s33, 2
	s_waitcnt lgkmcnt(0)
	v_mul_hi_u32 v1, s5, v16
	v_add_u32_e32 v1, v16, v1
	v_lshrrev_b32_e32 v1, s6, v1
	v_mul_lo_u32 v3, v1, s4
	v_sub_u32_e32 v3, v16, v3
	v_mul_lo_u32 v12, v3, s3
	v_mul_lo_u32 v14, v3, s2
	s_cbranch_scc1 .LBB9_1195
; %bb.1194:
	s_load_dwordx4 s[4:7], s[34:35], 0x10
	s_load_dwordx2 s[2:3], s[34:35], 0xcc
	s_waitcnt lgkmcnt(0)
	v_mul_hi_u32 v3, s5, v1
	v_add_u32_e32 v3, v1, v3
	v_lshrrev_b32_e32 v3, s6, v3
	v_mul_lo_u32 v3, v3, s4
	v_sub_u32_e32 v1, v1, v3
	v_mad_u64_u32 v[14:15], s[4:5], v1, s2, v[14:15]
	v_mad_u64_u32 v[12:13], s[2:3], v1, s3, v[12:13]
.LBB9_1195:
	s_load_dword s16, s[0:1], 0x160
	s_load_dwordx4 s[4:7], s[34:35], 0x148
	v_mov_b32_e32 v1, 0
	s_waitcnt lgkmcnt(0)
	s_bfe_u32 s14, s16, 0x80010
	s_cmp_lt_i32 s14, 11
	v_lshl_add_u64 v[0:1], s[6:7], 0, v[0:1]
	s_cbranch_scc1 .LBB9_1202
; %bb.1196:
	s_and_b32 s15, 0xffff, s14
	s_cmp_gt_i32 s15, 25
	s_mov_b64 s[8:9], 0
	s_cbranch_scc0 .LBB9_1204
; %bb.1197:
	s_cmp_gt_i32 s15, 28
	s_cbranch_scc0 .LBB9_1205
; %bb.1198:
	s_cmp_gt_i32 s15, 43
	;; [unrolled: 3-line block ×3, first 2 shown]
	s_cbranch_scc0 .LBB9_1207
; %bb.1200:
	s_cmp_eq_u32 s15, 46
	s_mov_b64 s[2:3], 0
	s_cbranch_scc0 .LBB9_1210
; %bb.1201:
	global_load_dword v3, v[0:1], off
	s_mov_b64 s[0:1], 0
	s_mov_b64 s[10:11], -1
	s_waitcnt vmcnt(0)
	v_lshlrev_b32_e32 v3, 16, v3
	v_cvt_f64_f32_e32 v[16:17], v3
	s_branch .LBB9_1211
.LBB9_1202:
	s_mov_b64 s[10:11], 0
                                        ; implicit-def: $vgpr16_vgpr17
	s_mov_b64 s[2:3], s[24:25]
	s_cbranch_execnz .LBB9_1274
.LBB9_1203:
	s_andn2_b64 vcc, exec, s[10:11]
	s_cbranch_vccz .LBB9_1319
	s_branch .LBB9_1833
.LBB9_1204:
	s_mov_b64 s[10:11], 0
	s_mov_b64 s[0:1], 0
                                        ; implicit-def: $vgpr16_vgpr17
	s_cbranch_execnz .LBB9_1241
	s_branch .LBB9_1270
.LBB9_1205:
	s_mov_b64 s[2:3], -1
	s_mov_b64 s[10:11], 0
	s_mov_b64 s[0:1], 0
                                        ; implicit-def: $vgpr16_vgpr17
	s_branch .LBB9_1220
.LBB9_1206:
	s_mov_b64 s[10:11], 0
	s_mov_b64 s[0:1], 0
                                        ; implicit-def: $vgpr16_vgpr17
	s_cbranch_execnz .LBB9_1216
	s_branch .LBB9_1219
.LBB9_1207:
	s_mov_b64 s[2:3], -1
	s_mov_b64 s[10:11], 0
	s_mov_b64 s[0:1], 0
                                        ; implicit-def: $vgpr16_vgpr17
	s_branch .LBB9_1211
.LBB9_1208:
	s_andn2_saveexec_b64 s[12:13], s[12:13]
	s_cbranch_execz .LBB9_1047
.LBB9_1209:
	s_mov_b32 s14, 0x46000000
	v_add_f32_e64 v3, |v2|, s14
	v_and_b32_e32 v3, 0xff, v3
	v_cmp_ne_u32_e32 vcc, 0, v3
	s_andn2_b64 s[10:11], s[10:11], exec
	s_and_b64 s[14:15], vcc, exec
	s_or_b64 s[10:11], s[10:11], s[14:15]
	s_or_b64 exec, exec, s[12:13]
	v_mov_b32_e32 v4, 0
	s_and_saveexec_b64 s[12:13], s[10:11]
	s_cbranch_execnz .LBB9_1048
	s_branch .LBB9_1049
.LBB9_1210:
	s_mov_b64 s[0:1], -1
                                        ; implicit-def: $vgpr16_vgpr17
	s_mov_b64 s[10:11], 0
.LBB9_1211:
	s_and_b64 vcc, exec, s[2:3]
	s_cbranch_vccz .LBB9_1214
; %bb.1212:
	s_cmp_eq_u32 s15, 44
	s_cbranch_scc0 .LBB9_1215
; %bb.1213:
	global_load_ubyte v3, v[0:1], off
	s_movk_i32 s2, 0xff
	s_waitcnt vmcnt(1)
	v_bfrev_b32_e32 v5, 4
	v_mov_b32_e32 v7, 0x7ff80000
	v_bfrev_b32_e32 v9, 28
	s_mov_b64 s[0:1], 0
	s_mov_b64 s[10:11], -1
	s_waitcnt vmcnt(0)
	v_lshlrev_b32_e32 v11, 23, v3
	v_cvt_f64_f32_e32 v[16:17], v11
	v_cmp_ne_u32_e32 vcc, s2, v3
	s_nop 1
	v_cndmask_b32_e32 v5, v5, v16, vcc
	v_cndmask_b32_e32 v7, v7, v17, vcc
	v_cmp_ne_u32_e32 vcc, 0, v3
	s_nop 1
	v_cndmask_b32_e32 v17, v9, v7, vcc
	v_cndmask_b32_e32 v16, 0, v5, vcc
.LBB9_1214:
	s_branch .LBB9_1219
.LBB9_1215:
	s_mov_b64 s[0:1], -1
                                        ; implicit-def: $vgpr16_vgpr17
	s_branch .LBB9_1219
.LBB9_1216:
	s_cmp_eq_u32 s15, 29
	s_cbranch_scc0 .LBB9_1218
; %bb.1217:
	global_load_dwordx2 v[16:17], v[0:1], off
	s_mov_b64 s[0:1], 0
	s_mov_b64 s[10:11], -1
	s_mov_b64 s[2:3], 0
	s_waitcnt vmcnt(0)
	v_cvt_f64_u32_e32 v[18:19], v17
	v_cvt_f64_u32_e32 v[16:17], v16
	v_ldexp_f64 v[18:19], v[18:19], 32
	v_add_f64 v[16:17], v[18:19], v[16:17]
	s_branch .LBB9_1220
.LBB9_1218:
	s_mov_b64 s[0:1], -1
                                        ; implicit-def: $vgpr16_vgpr17
.LBB9_1219:
	s_mov_b64 s[2:3], 0
.LBB9_1220:
	s_and_b64 vcc, exec, s[2:3]
	s_cbranch_vccz .LBB9_1240
; %bb.1221:
	s_cmp_lt_i32 s15, 27
	s_cbranch_scc1 .LBB9_1224
; %bb.1222:
	s_cmp_gt_i32 s15, 27
	s_cbranch_scc0 .LBB9_1225
; %bb.1223:
	global_load_dword v3, v[0:1], off
	s_mov_b64 s[2:3], 0
	s_waitcnt vmcnt(0)
	v_cvt_f64_u32_e32 v[16:17], v3
	s_branch .LBB9_1226
.LBB9_1224:
	s_mov_b64 s[2:3], -1
                                        ; implicit-def: $vgpr16_vgpr17
	s_branch .LBB9_1229
.LBB9_1225:
	s_mov_b64 s[2:3], -1
                                        ; implicit-def: $vgpr16_vgpr17
.LBB9_1226:
	s_andn2_b64 vcc, exec, s[2:3]
	s_cbranch_vccnz .LBB9_1228
; %bb.1227:
	global_load_ushort v3, v[0:1], off
	s_waitcnt vmcnt(0)
	v_cvt_f64_u32_e32 v[16:17], v3
.LBB9_1228:
	s_mov_b64 s[2:3], 0
.LBB9_1229:
	s_andn2_b64 vcc, exec, s[2:3]
	s_cbranch_vccnz .LBB9_1239
; %bb.1230:
	global_load_ubyte v3, v[0:1], off
	s_movk_i32 s2, 0x7f
	s_waitcnt vmcnt(0)
	v_cmp_lt_i16_e32 vcc, s2, v3
	s_mov_b64 s[2:3], 0
	s_and_saveexec_b64 s[10:11], vcc
	s_xor_b64 s[10:11], exec, s[10:11]
	s_cbranch_execz .LBB9_1234
; %bb.1231:
	s_movk_i32 s2, 0x80
	v_cmp_eq_u16_e32 vcc, s2, v3
	s_mov_b64 s[2:3], -1
	s_and_saveexec_b64 s[12:13], vcc
; %bb.1232:
	s_xor_b64 s[2:3], exec, -1
; %bb.1233:
	s_or_b64 exec, exec, s[12:13]
	s_and_b64 s[2:3], s[2:3], exec
.LBB9_1234:
	s_or_saveexec_b64 s[10:11], s[10:11]
	v_bfrev_b32_e32 v16, 4
	v_mov_b32_e32 v17, 0x7ff80000
	s_xor_b64 exec, exec, s[10:11]
; %bb.1235:
	v_cmp_ne_u16_e32 vcc, 0, v3
	s_andn2_b64 s[2:3], s[2:3], exec
	s_and_b64 s[12:13], vcc, exec
	v_mov_b64_e32 v[16:17], 0
	s_or_b64 s[2:3], s[2:3], s[12:13]
; %bb.1236:
	s_or_b64 exec, exec, s[10:11]
	s_and_saveexec_b64 s[10:11], s[2:3]
	s_cbranch_execz .LBB9_1238
; %bb.1237:
	v_lshlrev_b32_e32 v5, 24, v3
	v_and_b32_e32 v3, 0xffff, v3
	v_and_b32_e32 v7, 7, v3
	v_ffbh_u32_e32 v11, v7
	v_min_u32_e32 v11, 32, v11
	v_subrev_u32_e32 v13, 28, v11
	v_bfe_u32 v9, v3, 3, 4
	v_lshlrev_b32_e32 v3, v13, v3
	v_sub_u32_e32 v11, 29, v11
	v_and_b32_e32 v3, 7, v3
	v_cmp_eq_u32_e32 vcc, 0, v9
	v_and_b32_e32 v5, 0x80000000, v5
	s_nop 0
	v_cndmask_b32_e32 v9, v9, v11, vcc
	v_cndmask_b32_e32 v3, v7, v3, vcc
	v_mov_b32_e32 v7, 0x3b800000
	v_lshlrev_b32_e32 v3, 20, v3
	v_lshl_add_u32 v7, v9, 23, v7
	v_or3_b32 v3, v5, v7, v3
	v_cvt_f64_f32_e32 v[16:17], v3
.LBB9_1238:
	s_or_b64 exec, exec, s[10:11]
.LBB9_1239:
	s_mov_b64 s[10:11], -1
.LBB9_1240:
	s_branch .LBB9_1270
.LBB9_1241:
	s_cmp_gt_i32 s15, 22
	s_cbranch_scc0 .LBB9_1253
; %bb.1242:
	s_cmp_lt_i32 s15, 24
	s_cbranch_scc1 .LBB9_1254
; %bb.1243:
	s_cmp_gt_i32 s15, 24
	s_cbranch_scc0 .LBB9_1255
; %bb.1244:
	global_load_ubyte v3, v[0:1], off
	s_movk_i32 s2, 0x7f
	s_waitcnt vmcnt(0)
	v_cmp_lt_i16_e32 vcc, s2, v3
	s_mov_b64 s[2:3], 0
	s_and_saveexec_b64 s[8:9], vcc
	s_xor_b64 s[8:9], exec, s[8:9]
	s_cbranch_execz .LBB9_1248
; %bb.1245:
	s_movk_i32 s2, 0x80
	v_cmp_eq_u16_e32 vcc, s2, v3
	s_mov_b64 s[2:3], -1
	s_and_saveexec_b64 s[10:11], vcc
; %bb.1246:
	s_xor_b64 s[2:3], exec, -1
; %bb.1247:
	s_or_b64 exec, exec, s[10:11]
	s_and_b64 s[2:3], s[2:3], exec
.LBB9_1248:
	s_or_saveexec_b64 s[8:9], s[8:9]
	v_bfrev_b32_e32 v16, 4
	v_mov_b32_e32 v17, 0x7ff80000
	s_xor_b64 exec, exec, s[8:9]
; %bb.1249:
	v_cmp_ne_u16_e32 vcc, 0, v3
	s_andn2_b64 s[2:3], s[2:3], exec
	s_and_b64 s[10:11], vcc, exec
	v_mov_b64_e32 v[16:17], 0
	s_or_b64 s[2:3], s[2:3], s[10:11]
; %bb.1250:
	s_or_b64 exec, exec, s[8:9]
	s_and_saveexec_b64 s[8:9], s[2:3]
	s_cbranch_execz .LBB9_1252
; %bb.1251:
	v_lshlrev_b32_e32 v5, 24, v3
	v_and_b32_e32 v3, 0xffff, v3
	v_and_b32_e32 v7, 3, v3
	v_ffbh_u32_e32 v11, v7
	v_min_u32_e32 v11, 32, v11
	v_subrev_u32_e32 v13, 29, v11
	v_bfe_u32 v9, v3, 2, 5
	v_lshlrev_b32_e32 v3, v13, v3
	v_sub_u32_e32 v11, 30, v11
	v_and_b32_e32 v3, 3, v3
	v_cmp_eq_u32_e32 vcc, 0, v9
	v_and_b32_e32 v5, 0x80000000, v5
	s_nop 0
	v_cndmask_b32_e32 v9, v9, v11, vcc
	v_cndmask_b32_e32 v3, v7, v3, vcc
	v_mov_b32_e32 v7, 0x37800000
	v_lshlrev_b32_e32 v3, 21, v3
	v_lshl_add_u32 v7, v9, 23, v7
	v_or3_b32 v3, v5, v7, v3
	v_cvt_f64_f32_e32 v[16:17], v3
.LBB9_1252:
	s_or_b64 exec, exec, s[8:9]
	s_mov_b64 s[2:3], 0
	s_branch .LBB9_1256
.LBB9_1253:
                                        ; implicit-def: $vgpr16_vgpr17
	s_mov_b64 s[8:9], 0
	s_branch .LBB9_1262
.LBB9_1254:
	s_mov_b64 s[2:3], -1
                                        ; implicit-def: $vgpr16_vgpr17
	s_branch .LBB9_1259
.LBB9_1255:
	s_mov_b64 s[2:3], -1
                                        ; implicit-def: $vgpr16_vgpr17
.LBB9_1256:
	s_and_b64 vcc, exec, s[2:3]
	s_cbranch_vccz .LBB9_1258
; %bb.1257:
	global_load_ubyte v3, v[0:1], off
	s_mov_b32 s2, 0x7f800000
	s_waitcnt vmcnt(0)
	v_lshlrev_b32_e32 v3, 24, v3
	v_and_b32_e32 v5, 0x7f000000, v3
	v_ffbh_u32_e32 v7, v5
	v_min_u32_e32 v7, 32, v7
	v_sub_u32_e64 v7, v7, 4 clamp
	v_lshlrev_b32_e32 v11, v7, v5
	v_lshlrev_b32_e32 v7, 23, v7
	v_lshrrev_b32_e32 v11, 4, v11
	v_add_u32_e32 v9, 0x1000000, v5
	v_sub_u32_e32 v7, v11, v7
	v_ashrrev_i32_e32 v9, 8, v9
	v_add_u32_e32 v7, 0x3c000000, v7
	v_and_or_b32 v7, v9, s2, v7
	v_cmp_ne_u32_e32 vcc, 0, v5
	s_brev_b32 s2, 1
	s_nop 0
	v_cndmask_b32_e32 v5, 0, v7, vcc
	v_and_or_b32 v3, v3, s2, v5
	v_cvt_f64_f32_e32 v[16:17], v3
.LBB9_1258:
	s_mov_b64 s[2:3], 0
.LBB9_1259:
	s_andn2_b64 vcc, exec, s[2:3]
	s_cbranch_vccnz .LBB9_1261
; %bb.1260:
	global_load_ubyte v3, v[0:1], off
	s_movk_i32 s2, 0x7f00
	s_brev_b32 s3, 16
	s_waitcnt vmcnt(0)
	v_lshlrev_b16_e32 v5, 8, v3
	v_lshlrev_b32_e32 v3, 25, v3
	v_lshrrev_b32_e32 v7, 4, v3
	v_and_or_b32 v9, v5, s2, 0.5
	v_or_b32_e32 v7, 0x70000000, v7
	v_add_f32_e32 v9, -0.5, v9
	v_mul_f32_e32 v7, 0x7800000, v7
	v_cmp_gt_u32_e32 vcc, s3, v3
	v_bfe_i32 v5, v5, 0, 16
	s_brev_b32 s2, 1
	v_cndmask_b32_e32 v3, v7, v9, vcc
	v_and_or_b32 v3, v5, s2, v3
	v_cvt_f64_f32_e32 v[16:17], v3
.LBB9_1261:
	s_mov_b64 s[10:11], -1
	s_mov_b64 s[8:9], 0
	s_cbranch_execnz .LBB9_1270
.LBB9_1262:
	s_cmp_gt_i32 s15, 14
	s_cbranch_scc0 .LBB9_1265
; %bb.1263:
	s_cmp_eq_u32 s15, 15
	s_cbranch_scc0 .LBB9_1266
; %bb.1264:
	global_load_ushort v3, v[0:1], off
	s_mov_b64 s[0:1], 0
	s_mov_b64 s[10:11], -1
	s_waitcnt vmcnt(0)
	v_lshlrev_b32_e32 v3, 16, v3
	v_cvt_f64_f32_e32 v[16:17], v3
	s_branch .LBB9_1267
.LBB9_1265:
	s_mov_b64 s[2:3], -1
                                        ; implicit-def: $vgpr16_vgpr17
	s_branch .LBB9_1268
.LBB9_1266:
	s_mov_b64 s[0:1], -1
                                        ; implicit-def: $vgpr16_vgpr17
.LBB9_1267:
	s_mov_b64 s[2:3], 0
.LBB9_1268:
	s_and_b64 vcc, exec, s[2:3]
	s_cbranch_vccz .LBB9_1270
; %bb.1269:
	s_cmp_lg_u32 s15, 11
	s_mov_b64 s[8:9], -1
	s_cselect_b64 s[0:1], -1, 0
.LBB9_1270:
	s_and_b64 vcc, exec, s[0:1]
	s_mov_b64 s[2:3], s[24:25]
	s_cbranch_vccnz .LBB9_1343
; %bb.1271:
	s_andn2_b64 vcc, exec, s[8:9]
	s_cbranch_vccnz .LBB9_1273
.LBB9_1272:
	global_load_ubyte v3, v[0:1], off
	s_waitcnt vmcnt(1)
	v_mov_b32_e32 v5, 0x3ff00000
	v_mov_b32_e32 v16, 0
	s_mov_b64 s[10:11], -1
	s_waitcnt vmcnt(0)
	v_cmp_ne_u16_e32 vcc, 0, v3
	s_nop 1
	v_cndmask_b32_e32 v17, 0, v5, vcc
.LBB9_1273:
	s_branch .LBB9_1203
.LBB9_1274:
	s_and_b32 s8, 0xffff, s14
	s_cmp_lt_i32 s8, 5
	s_cbranch_scc1 .LBB9_1279
; %bb.1275:
	s_cmp_lt_i32 s8, 8
	s_cbranch_scc1 .LBB9_1280
; %bb.1276:
	;; [unrolled: 3-line block ×3, first 2 shown]
	s_cmp_gt_i32 s8, 9
	s_cbranch_scc0 .LBB9_1282
; %bb.1278:
	global_load_dwordx2 v[16:17], v[0:1], off
	s_mov_b64 s[0:1], 0
	s_branch .LBB9_1283
.LBB9_1279:
                                        ; implicit-def: $vgpr16_vgpr17
	s_branch .LBB9_1300
.LBB9_1280:
                                        ; implicit-def: $vgpr16_vgpr17
	s_branch .LBB9_1289
.LBB9_1281:
	s_mov_b64 s[0:1], -1
                                        ; implicit-def: $vgpr16_vgpr17
	s_branch .LBB9_1286
.LBB9_1282:
	s_mov_b64 s[0:1], -1
                                        ; implicit-def: $vgpr16_vgpr17
.LBB9_1283:
	s_andn2_b64 vcc, exec, s[0:1]
	s_cbranch_vccnz .LBB9_1285
; %bb.1284:
	global_load_dword v3, v[0:1], off
	s_waitcnt vmcnt(0)
	v_cvt_f64_f32_e32 v[16:17], v3
.LBB9_1285:
	s_mov_b64 s[0:1], 0
.LBB9_1286:
	s_andn2_b64 vcc, exec, s[0:1]
	s_cbranch_vccnz .LBB9_1288
; %bb.1287:
	global_load_dword v3, v[0:1], off
	s_waitcnt vmcnt(0)
	v_cvt_f32_f16_e32 v3, v3
	v_cvt_f64_f32_e32 v[16:17], v3
.LBB9_1288:
	s_cbranch_execnz .LBB9_1299
.LBB9_1289:
	s_cmp_lt_i32 s8, 6
	s_cbranch_scc1 .LBB9_1292
; %bb.1290:
	s_cmp_gt_i32 s8, 6
	s_cbranch_scc0 .LBB9_1293
; %bb.1291:
	global_load_dwordx2 v[16:17], v[0:1], off
	s_mov_b64 s[0:1], 0
	s_branch .LBB9_1294
.LBB9_1292:
	s_mov_b64 s[0:1], -1
                                        ; implicit-def: $vgpr16_vgpr17
	s_branch .LBB9_1297
.LBB9_1293:
	s_mov_b64 s[0:1], -1
                                        ; implicit-def: $vgpr16_vgpr17
.LBB9_1294:
	s_andn2_b64 vcc, exec, s[0:1]
	s_cbranch_vccnz .LBB9_1296
; %bb.1295:
	global_load_dword v3, v[0:1], off
	s_waitcnt vmcnt(0)
	v_cvt_f64_f32_e32 v[16:17], v3
.LBB9_1296:
	s_mov_b64 s[0:1], 0
.LBB9_1297:
	s_andn2_b64 vcc, exec, s[0:1]
	s_cbranch_vccnz .LBB9_1299
; %bb.1298:
	global_load_ushort v3, v[0:1], off
	s_waitcnt vmcnt(0)
	v_cvt_f32_f16_e32 v3, v3
	v_cvt_f64_f32_e32 v[16:17], v3
.LBB9_1299:
	s_cbranch_execnz .LBB9_1318
.LBB9_1300:
	s_cmp_lt_i32 s8, 2
	s_cbranch_scc1 .LBB9_1304
; %bb.1301:
	s_cmp_lt_i32 s8, 3
	s_cbranch_scc1 .LBB9_1305
; %bb.1302:
	s_cmp_gt_i32 s8, 3
	s_cbranch_scc0 .LBB9_1306
; %bb.1303:
	global_load_dwordx2 v[16:17], v[0:1], off
	s_mov_b64 s[0:1], 0
	s_waitcnt vmcnt(0)
	v_cvt_f64_i32_e32 v[18:19], v17
	v_cvt_f64_u32_e32 v[16:17], v16
	v_ldexp_f64 v[18:19], v[18:19], 32
	v_add_f64 v[16:17], v[18:19], v[16:17]
	s_branch .LBB9_1307
.LBB9_1304:
                                        ; implicit-def: $vgpr16_vgpr17
	s_branch .LBB9_1313
.LBB9_1305:
	s_mov_b64 s[0:1], -1
                                        ; implicit-def: $vgpr16_vgpr17
	s_branch .LBB9_1310
.LBB9_1306:
	s_mov_b64 s[0:1], -1
                                        ; implicit-def: $vgpr16_vgpr17
.LBB9_1307:
	s_andn2_b64 vcc, exec, s[0:1]
	s_cbranch_vccnz .LBB9_1309
; %bb.1308:
	global_load_dword v3, v[0:1], off
	s_waitcnt vmcnt(0)
	v_cvt_f64_i32_e32 v[16:17], v3
.LBB9_1309:
	s_mov_b64 s[0:1], 0
.LBB9_1310:
	s_andn2_b64 vcc, exec, s[0:1]
	s_cbranch_vccnz .LBB9_1312
; %bb.1311:
	global_load_sshort v3, v[0:1], off
	s_waitcnt vmcnt(0)
	v_cvt_f64_i32_e32 v[16:17], v3
.LBB9_1312:
	s_cbranch_execnz .LBB9_1318
.LBB9_1313:
	s_cmp_gt_i32 s8, 0
	s_cbranch_scc0 .LBB9_1315
; %bb.1314:
	global_load_sbyte v3, v[0:1], off
	s_mov_b64 s[0:1], 0
	s_waitcnt vmcnt(0)
	v_cvt_f64_i32_e32 v[16:17], v3
	s_branch .LBB9_1316
.LBB9_1315:
	s_mov_b64 s[0:1], -1
                                        ; implicit-def: $vgpr16_vgpr17
.LBB9_1316:
	s_andn2_b64 vcc, exec, s[0:1]
	s_cbranch_vccnz .LBB9_1318
; %bb.1317:
	global_load_ubyte v0, v[0:1], off
	s_waitcnt vmcnt(0)
	v_cvt_f64_u32_e32 v[16:17], v0
.LBB9_1318:
.LBB9_1319:
	s_mov_b32 s0, 0
	s_mov_b32 s1, 0x40200000
	s_waitcnt vmcnt(0)
	v_cmp_le_f64_e64 s[0:1], |v[16:17]|, s[0:1]
                                        ; implicit-def: $vgpr0_vgpr1
	s_and_saveexec_b64 s[8:9], s[0:1]
	s_xor_b64 s[0:1], exec, s[8:9]
	s_cbranch_execz .LBB9_1325
; %bb.1320:
	s_mov_b32 s8, 0xc3c4014
	v_fma_f64 v[0:1], |v[16:17]|, 0.5, -2.0
	v_mov_b32_e32 v18, 0xc38a0576
	v_mov_b32_e32 v19, 0xbc7857d0
	s_mov_b32 s9, 0x3c499f2a
	v_fmac_f64_e32 v[18:19], s[8:9], v[0:1]
	v_mov_b32_e32 v20, 0xc3c4014
	v_mov_b32_e32 v21, 0xbc499f2a
	s_mov_b32 s8, 0xe593bfac
	v_fmac_f64_e32 v[20:21], v[0:1], v[18:19]
	s_mov_b32 s9, 0x3ca663e3
	v_add_f64 v[20:21], v[20:21], s[8:9]
	s_mov_b32 s8, 0x7e0d1573
	v_fma_f64 v[18:19], v[0:1], v[20:21], -v[18:19]
	s_mov_b32 s9, 0xbcd3eaaa
	v_add_f64 v[18:19], v[18:19], s[8:9]
	s_mov_b32 s8, 0x615290c
	v_fma_f64 v[20:21], v[0:1], v[18:19], -v[20:21]
	;; [unrolled: 4-line block ×26, first 2 shown]
	s_mov_b32 s9, 0x3fd02a63
	v_add_f64 v[0:1], v[0:1], s[8:9]
	v_add_f64 v[0:1], v[0:1], -v[20:21]
	s_mov_b32 s8, 0x652b82fe
	v_mul_f64 v[0:1], v[0:1], 0.5
	s_mov_b32 s9, 0x3ff71547
	v_mul_f64 v[18:19], |v[16:17]|, v[0:1]
	v_mul_f64 v[0:1], |v[16:17]|, s[8:9]
	s_mov_b32 s8, 0xfefa39ef
	v_rndne_f64_e32 v[0:1], v[0:1]
	s_mov_b32 s9, 0xbfe62e42
	v_fma_f64 v[20:21], v[0:1], s[8:9], |v[16:17]|
	s_mov_b32 s8, 0x3b39803f
	s_mov_b32 s9, 0xbc7abc9e
	v_fmac_f64_e32 v[20:21], s[8:9], v[0:1]
	s_mov_b32 s8, 0x6a5dcb37
	v_mov_b32_e32 v22, 0xfca7ab0c
	v_mov_b32_e32 v23, 0x3e928af3
	s_mov_b32 s9, 0x3e5ade15
	v_fmac_f64_e32 v[22:23], s[8:9], v[20:21]
	v_mov_b32_e32 v24, 0x623fde64
	v_mov_b32_e32 v25, 0x3ec71dee
	v_fmac_f64_e32 v[24:25], v[20:21], v[22:23]
	v_mov_b32_e32 v22, 0x7c89e6b0
	v_mov_b32_e32 v23, 0x3efa0199
	;; [unrolled: 3-line block ×8, first 2 shown]
	v_fmac_f64_e32 v[22:23], v[20:21], v[24:25]
	v_fma_f64 v[22:23], v[20:21], v[22:23], 1.0
	v_cmp_ngt_f64_e32 vcc, 0, v[16:17]
	v_fma_f64 v[20:21], v[20:21], v[22:23], 1.0
	v_cvt_i32_f64_e32 v3, v[0:1]
                                        ; implicit-def: $vgpr0_vgpr1
	s_and_saveexec_b64 s[8:9], vcc
	s_xor_b64 s[8:9], exec, s[8:9]
; %bb.1321:
	s_mov_b32 s10, 0
	s_mov_b32 s11, 0x40900000
	v_ldexp_f64 v[0:1], v[20:21], v3
	v_mov_b32_e32 v3, 0x7ff00000
	v_cmp_ngt_f64_e64 vcc, |v[16:17]|, s[10:11]
                                        ; implicit-def: $vgpr20_vgpr21
                                        ; implicit-def: $vgpr16_vgpr17
	s_nop 1
	v_cndmask_b32_e32 v1, v3, v1, vcc
	v_cndmask_b32_e32 v0, 0, v0, vcc
	v_mul_f64 v[0:1], v[0:1], v[18:19]
                                        ; implicit-def: $vgpr3
                                        ; implicit-def: $vgpr18_vgpr19
; %bb.1322:
	s_andn2_saveexec_b64 s[8:9], s[8:9]
; %bb.1323:
	s_mov_b32 s10, 0
	s_mov_b32 s11, 0x40900000
	v_ldexp_f64 v[0:1], -v[20:21], v3
	v_mov_b32_e32 v3, 0xfff00000
	v_cmp_ngt_f64_e64 vcc, |v[16:17]|, s[10:11]
	s_nop 1
	v_cndmask_b32_e32 v1, v3, v1, vcc
	v_cndmask_b32_e32 v0, 0, v0, vcc
	v_mul_f64 v[0:1], v[0:1], v[18:19]
; %bb.1324:
	s_or_b64 exec, exec, s[8:9]
                                        ; implicit-def: $vgpr16_vgpr17
.LBB9_1325:
	s_andn2_saveexec_b64 s[8:9], s[0:1]
	s_cbranch_execz .LBB9_1331
; %bb.1326:
	s_mov_b32 s0, 0
	v_and_b32_e32 v1, 0x7fffffff, v17
	v_mov_b32_e32 v0, v16
	s_mov_b32 s1, 0x40400000
	v_div_scale_f64 v[18:19], s[10:11], v[0:1], v[0:1], s[0:1]
	v_rcp_f64_e32 v[20:21], v[18:19]
	v_div_scale_f64 v[0:1], vcc, s[0:1], v[0:1], s[0:1]
	v_mov_b32_e32 v24, 0xfca7ab0c
	v_fma_f64 v[22:23], -v[18:19], v[20:21], 1.0
	v_fmac_f64_e32 v[20:21], v[20:21], v[22:23]
	v_fma_f64 v[22:23], -v[18:19], v[20:21], 1.0
	v_fmac_f64_e32 v[20:21], v[20:21], v[22:23]
	v_mul_f64 v[22:23], v[0:1], v[20:21]
	v_fma_f64 v[0:1], -v[18:19], v[22:23], v[0:1]
	v_div_fmas_f64 v[0:1], v[0:1], v[20:21], v[22:23]
	v_div_fixup_f64 v[0:1], v[0:1], |v[16:17]|, s[0:1]
	s_mov_b32 s0, 0xb352e8e6
	v_add_f64 v[0:1], v[0:1], -2.0
	v_mov_b32_e32 v18, 0xea87b950
	v_mov_b32_e32 v19, 0x3c545b8a
	s_mov_b32 s1, 0x3c61556d
	v_fmac_f64_e32 v[18:19], s[0:1], v[0:1]
	v_mov_b32_e32 v20, 0xb352e8e6
	v_mov_b32_e32 v21, 0xbc61556d
	s_mov_b32 s0, 0xb2532277
	v_fmac_f64_e32 v[20:21], v[0:1], v[18:19]
	s_mov_b32 s1, 0xbc8acea3
	v_add_f64 v[20:21], v[20:21], s[0:1]
	s_mov_b32 s0, 0x9c773320
	v_fma_f64 v[18:19], v[0:1], v[20:21], -v[18:19]
	s_mov_b32 s1, 0xbc82806c
	v_add_f64 v[18:19], v[18:19], s[0:1]
	s_mov_b32 s0, 0xfceb588a
	v_fma_f64 v[20:21], v[0:1], v[18:19], -v[20:21]
	;; [unrolled: 4-line block ×22, first 2 shown]
	s_mov_b32 s1, 0x3fe8ea18
	v_add_f64 v[0:1], v[0:1], s[0:1]
	s_mov_b32 s0, 0x652b82fe
	s_mov_b32 s1, 0x3ff71547
	v_mul_f64 v[18:19], |v[16:17]|, s[0:1]
	s_mov_b32 s0, 0xfefa39ef
	v_rndne_f64_e32 v[18:19], v[18:19]
	s_mov_b32 s1, 0xbfe62e42
	v_fma_f64 v[22:23], v[18:19], s[0:1], |v[16:17]|
	s_mov_b32 s0, 0x3b39803f
	s_mov_b32 s1, 0xbc7abc9e
	v_fmac_f64_e32 v[22:23], s[0:1], v[18:19]
	s_mov_b32 s0, 0x6a5dcb37
	v_mov_b32_e32 v25, 0x3e928af3
	s_mov_b32 s1, 0x3e5ade15
	v_fmac_f64_e32 v[24:25], s[0:1], v[22:23]
	v_mov_b32_e32 v26, 0x623fde64
	v_mov_b32_e32 v27, 0x3ec71dee
	v_fmac_f64_e32 v[26:27], v[22:23], v[24:25]
	v_mov_b32_e32 v24, 0x7c89e6b0
	v_mov_b32_e32 v25, 0x3efa0199
	v_fmac_f64_e32 v[24:25], v[22:23], v[26:27]
	v_mov_b32_e32 v26, 0x14761f6e
	v_mov_b32_e32 v27, 0x3f2a01a0
	v_fmac_f64_e32 v[26:27], v[22:23], v[24:25]
	v_mov_b32_e32 v24, 0x1852b7b0
	v_mov_b32_e32 v25, 0x3f56c16c
	v_fmac_f64_e32 v[24:25], v[22:23], v[26:27]
	v_mov_b32_e32 v26, 0x11122322
	v_mov_b32_e32 v27, 0x3f811111
	v_fmac_f64_e32 v[26:27], v[22:23], v[24:25]
	v_mov_b32_e32 v24, 0x555502a1
	v_mov_b32_e32 v25, 0x3fa55555
	v_fmac_f64_e32 v[24:25], v[22:23], v[26:27]
	v_mov_b32_e32 v26, 0x55555511
	v_mov_b32_e32 v27, 0x3fc55555
	v_fmac_f64_e32 v[26:27], v[22:23], v[24:25]
	v_mov_b32_e32 v24, 11
	v_mov_b32_e32 v25, 0x3fe00000
	v_fmac_f64_e32 v[24:25], v[22:23], v[26:27]
	v_fma_f64 v[24:25], v[22:23], v[24:25], 1.0
	s_mov_b32 s0, 0
	v_fma_f64 v[22:23], v[22:23], v[24:25], 1.0
	v_cvt_i32_f64_e32 v3, v[18:19]
	s_mov_b32 s1, 0x40900000
	v_ldexp_f64 v[18:19], v[22:23], v3
	v_mov_b32_e32 v3, 0x7ff00000
	v_cmp_ngt_f64_e64 s[0:1], |v[16:17]|, s[0:1]
	v_cmp_ngt_f64_e32 vcc, 0, v[16:17]
	v_add_f64 v[20:21], v[0:1], -v[20:21]
	v_cndmask_b32_e64 v19, v3, v19, s[0:1]
	v_cndmask_b32_e64 v18, 0, v18, s[0:1]
                                        ; implicit-def: $vgpr0_vgpr1
	s_and_saveexec_b64 s[0:1], vcc
	s_xor_b64 s[0:1], exec, s[0:1]
	s_cbranch_execz .LBB9_1328
; %bb.1327:
	s_mov_b32 s10, 0
	s_brev_b32 s11, 8
	v_mov_b32_e32 v0, 0x100
	v_cmp_lt_f64_e64 vcc, |v[16:17]|, s[10:11]
	v_mul_f64 v[20:21], v[20:21], 0.5
	v_mul_f64 v[18:19], v[18:19], v[20:21]
	v_cndmask_b32_e32 v0, 0, v0, vcc
	v_ldexp_f64 v[0:1], |v[16:17]|, v0
	v_rsq_f64_e32 v[16:17], v[0:1]
	v_mov_b32_e32 v3, 0xffffff80
	v_cndmask_b32_e32 v3, 0, v3, vcc
	v_mul_f64 v[20:21], v[0:1], v[16:17]
	v_mul_f64 v[16:17], v[16:17], 0.5
	v_fma_f64 v[22:23], -v[16:17], v[20:21], 0.5
	v_fmac_f64_e32 v[20:21], v[20:21], v[22:23]
	v_fma_f64 v[24:25], -v[20:21], v[20:21], v[0:1]
	v_fmac_f64_e32 v[16:17], v[16:17], v[22:23]
	v_fmac_f64_e32 v[20:21], v[24:25], v[16:17]
	v_fma_f64 v[22:23], -v[20:21], v[20:21], v[0:1]
	v_fmac_f64_e32 v[20:21], v[22:23], v[16:17]
	v_ldexp_f64 v[16:17], v[20:21], v3
	v_mov_b32_e32 v3, 0x260
	v_cmp_class_f64_e32 vcc, v[0:1], v3
	s_nop 1
	v_cndmask_b32_e32 v1, v17, v1, vcc
	v_cndmask_b32_e32 v0, v16, v0, vcc
	v_div_scale_f64 v[16:17], s[10:11], v[0:1], v[0:1], v[18:19]
	v_rcp_f64_e32 v[20:21], v[16:17]
	s_nop 0
	v_fma_f64 v[22:23], -v[16:17], v[20:21], 1.0
	v_fmac_f64_e32 v[20:21], v[20:21], v[22:23]
	v_fma_f64 v[22:23], -v[16:17], v[20:21], 1.0
	v_fmac_f64_e32 v[20:21], v[20:21], v[22:23]
	v_div_scale_f64 v[22:23], vcc, v[18:19], v[0:1], v[18:19]
	v_mul_f64 v[24:25], v[22:23], v[20:21]
	v_fma_f64 v[16:17], -v[16:17], v[24:25], v[22:23]
	s_nop 1
	v_div_fmas_f64 v[16:17], v[16:17], v[20:21], v[24:25]
	v_div_fixup_f64 v[0:1], v[16:17], v[0:1], v[18:19]
                                        ; implicit-def: $vgpr16_vgpr17
                                        ; implicit-def: $vgpr20_vgpr21
                                        ; implicit-def: $vgpr18_vgpr19
.LBB9_1328:
	s_andn2_saveexec_b64 s[0:1], s[0:1]
	s_cbranch_execz .LBB9_1330
; %bb.1329:
	s_mov_b32 s10, 0
	s_brev_b32 s11, 8
	v_mov_b32_e32 v0, 0x100
	v_cmp_lt_f64_e64 vcc, |v[16:17]|, s[10:11]
	v_mov_b32_e32 v3, 0xffffff80
	s_nop 0
	v_cndmask_b32_e32 v0, 0, v0, vcc
	v_ldexp_f64 v[0:1], |v[16:17]|, v0
	v_rsq_f64_e32 v[16:17], v[0:1]
	v_cndmask_b32_e32 v3, 0, v3, vcc
	v_mul_f64 v[22:23], v[0:1], v[16:17]
	v_mul_f64 v[16:17], v[16:17], 0.5
	v_fma_f64 v[24:25], -v[16:17], v[22:23], 0.5
	v_fmac_f64_e32 v[22:23], v[22:23], v[24:25]
	v_fma_f64 v[26:27], -v[22:23], v[22:23], v[0:1]
	v_fmac_f64_e32 v[16:17], v[16:17], v[24:25]
	v_fmac_f64_e32 v[22:23], v[26:27], v[16:17]
	v_fma_f64 v[24:25], -v[22:23], v[22:23], v[0:1]
	v_fmac_f64_e32 v[22:23], v[24:25], v[16:17]
	v_ldexp_f64 v[16:17], v[22:23], v3
	v_mov_b32_e32 v3, 0x260
	v_cmp_class_f64_e32 vcc, v[0:1], v3
	s_nop 1
	v_cndmask_b32_e32 v1, v17, v1, vcc
	v_cndmask_b32_e32 v0, v16, v0, vcc
	v_mul_f64 v[16:17], v[20:21], -0.5
	v_mul_f64 v[16:17], v[18:19], v[16:17]
	v_div_scale_f64 v[18:19], s[10:11], v[0:1], v[0:1], v[16:17]
	v_rcp_f64_e32 v[20:21], v[18:19]
	s_nop 0
	v_fma_f64 v[22:23], -v[18:19], v[20:21], 1.0
	v_fmac_f64_e32 v[20:21], v[20:21], v[22:23]
	v_fma_f64 v[22:23], -v[18:19], v[20:21], 1.0
	v_fmac_f64_e32 v[20:21], v[20:21], v[22:23]
	v_div_scale_f64 v[22:23], vcc, v[16:17], v[0:1], v[16:17]
	v_mul_f64 v[24:25], v[22:23], v[20:21]
	v_fma_f64 v[18:19], -v[18:19], v[24:25], v[22:23]
	s_nop 1
	v_div_fmas_f64 v[18:19], v[18:19], v[20:21], v[24:25]
	v_div_fixup_f64 v[0:1], v[18:19], v[0:1], v[16:17]
.LBB9_1330:
	s_or_b64 exec, exec, s[0:1]
.LBB9_1331:
	s_or_b64 exec, exec, s[8:9]
	s_lshr_b32 s0, s16, 16
	v_mov_b32_e32 v5, 0
	s_and_b32 s17, s0, 0xff
	s_cmp_lt_i32 s17, 11
	v_lshl_add_u64 v[4:5], s[6:7], 0, v[4:5]
	s_cbranch_scc1 .LBB9_1338
; %bb.1332:
	s_and_b32 s18, 0xffff, s17
	s_cmp_gt_i32 s18, 25
	s_mov_b64 s[8:9], 0
	s_cbranch_scc0 .LBB9_1340
; %bb.1333:
	s_cmp_gt_i32 s18, 28
	s_cbranch_scc0 .LBB9_1341
; %bb.1334:
	s_cmp_gt_i32 s18, 43
	;; [unrolled: 3-line block ×3, first 2 shown]
	s_cbranch_scc0 .LBB9_1344
; %bb.1336:
	s_cmp_eq_u32 s18, 46
	s_mov_b64 s[12:13], 0
	s_cbranch_scc0 .LBB9_1347
; %bb.1337:
	global_load_dword v3, v[4:5], off
	s_mov_b64 s[0:1], 0
	s_mov_b64 s[10:11], -1
	s_waitcnt vmcnt(0)
	v_lshlrev_b32_e32 v3, 16, v3
	v_cvt_f64_f32_e32 v[16:17], v3
	s_branch .LBB9_1348
.LBB9_1338:
	s_mov_b64 s[10:11], 0
                                        ; implicit-def: $vgpr16_vgpr17
	s_cbranch_execnz .LBB9_1413
.LBB9_1339:
	s_andn2_b64 vcc, exec, s[10:11]
	s_cbranch_vccnz .LBB9_1833
	s_branch .LBB9_1460
.LBB9_1340:
	s_mov_b64 s[10:11], 0
	s_mov_b64 s[0:1], 0
                                        ; implicit-def: $vgpr16_vgpr17
	s_cbranch_execnz .LBB9_1379
	s_branch .LBB9_1409
.LBB9_1341:
	s_mov_b64 s[12:13], -1
	s_mov_b64 s[10:11], 0
	s_mov_b64 s[0:1], 0
                                        ; implicit-def: $vgpr16_vgpr17
	s_branch .LBB9_1358
.LBB9_1342:
	s_mov_b64 s[12:13], -1
	s_mov_b64 s[10:11], 0
	s_mov_b64 s[0:1], 0
                                        ; implicit-def: $vgpr16_vgpr17
	s_branch .LBB9_1353
.LBB9_1343:
	s_or_b64 s[2:3], s[24:25], exec
	s_trap 2
	s_cbranch_execz .LBB9_1272
	s_branch .LBB9_1273
.LBB9_1344:
	s_mov_b64 s[12:13], -1
	s_mov_b64 s[10:11], 0
	s_mov_b64 s[0:1], 0
                                        ; implicit-def: $vgpr16_vgpr17
	s_branch .LBB9_1348
.LBB9_1345:
	s_andn2_saveexec_b64 s[14:15], s[14:15]
	s_cbranch_execz .LBB9_1059
.LBB9_1346:
	s_mov_b32 s18, 0x42800000
	v_add_f32_e64 v3, |v2|, s18
	v_and_b32_e32 v3, 0xff, v3
	v_cmp_ne_u32_e32 vcc, 0, v3
	s_andn2_b64 s[12:13], s[12:13], exec
	s_and_b64 s[18:19], vcc, exec
	s_or_b64 s[12:13], s[12:13], s[18:19]
	s_or_b64 exec, exec, s[14:15]
	v_mov_b32_e32 v4, 0
	s_and_saveexec_b64 s[14:15], s[12:13]
	s_cbranch_execnz .LBB9_1060
	s_branch .LBB9_1061
.LBB9_1347:
	s_mov_b64 s[0:1], -1
                                        ; implicit-def: $vgpr16_vgpr17
	s_mov_b64 s[10:11], 0
.LBB9_1348:
	s_and_b64 vcc, exec, s[12:13]
	s_cbranch_vccz .LBB9_1352
; %bb.1349:
	s_cmp_eq_u32 s18, 44
	s_cbranch_scc0 .LBB9_1351
; %bb.1350:
	global_load_ubyte v3, v[4:5], off
	s_movk_i32 s10, 0xff
	v_bfrev_b32_e32 v7, 4
	v_mov_b32_e32 v9, 0x7ff80000
	v_bfrev_b32_e32 v11, 28
	s_mov_b64 s[0:1], 0
	s_waitcnt vmcnt(0)
	v_lshlrev_b32_e32 v13, 23, v3
	v_cvt_f64_f32_e32 v[16:17], v13
	v_cmp_ne_u32_e32 vcc, s10, v3
	s_mov_b64 s[10:11], -1
	s_nop 0
	v_cndmask_b32_e32 v7, v7, v16, vcc
	v_cndmask_b32_e32 v9, v9, v17, vcc
	v_cmp_ne_u32_e32 vcc, 0, v3
	s_nop 1
	v_cndmask_b32_e32 v17, v11, v9, vcc
	v_cndmask_b32_e32 v16, 0, v7, vcc
	s_branch .LBB9_1352
.LBB9_1351:
	s_mov_b64 s[0:1], -1
                                        ; implicit-def: $vgpr16_vgpr17
.LBB9_1352:
	s_mov_b64 s[12:13], 0
.LBB9_1353:
	s_and_b64 vcc, exec, s[12:13]
	s_cbranch_vccz .LBB9_1357
; %bb.1354:
	s_cmp_eq_u32 s18, 29
	s_cbranch_scc0 .LBB9_1356
; %bb.1355:
	global_load_dwordx2 v[16:17], v[4:5], off
	s_mov_b64 s[0:1], 0
	s_mov_b64 s[10:11], -1
	s_mov_b64 s[12:13], 0
	s_waitcnt vmcnt(0)
	v_cvt_f64_u32_e32 v[18:19], v17
	v_cvt_f64_u32_e32 v[16:17], v16
	v_ldexp_f64 v[18:19], v[18:19], 32
	v_add_f64 v[16:17], v[18:19], v[16:17]
	s_branch .LBB9_1358
.LBB9_1356:
	s_mov_b64 s[0:1], -1
                                        ; implicit-def: $vgpr16_vgpr17
.LBB9_1357:
	s_mov_b64 s[12:13], 0
.LBB9_1358:
	s_and_b64 vcc, exec, s[12:13]
	s_cbranch_vccz .LBB9_1378
; %bb.1359:
	s_cmp_lt_i32 s18, 27
	s_cbranch_scc1 .LBB9_1362
; %bb.1360:
	s_cmp_gt_i32 s18, 27
	s_cbranch_scc0 .LBB9_1363
; %bb.1361:
	global_load_dword v3, v[4:5], off
	s_mov_b64 s[10:11], 0
	s_waitcnt vmcnt(0)
	v_cvt_f64_u32_e32 v[16:17], v3
	s_branch .LBB9_1364
.LBB9_1362:
	s_mov_b64 s[10:11], -1
                                        ; implicit-def: $vgpr16_vgpr17
	s_branch .LBB9_1367
.LBB9_1363:
	s_mov_b64 s[10:11], -1
                                        ; implicit-def: $vgpr16_vgpr17
.LBB9_1364:
	s_andn2_b64 vcc, exec, s[10:11]
	s_cbranch_vccnz .LBB9_1366
; %bb.1365:
	global_load_ushort v3, v[4:5], off
	s_waitcnt vmcnt(0)
	v_cvt_f64_u32_e32 v[16:17], v3
.LBB9_1366:
	s_mov_b64 s[10:11], 0
.LBB9_1367:
	s_andn2_b64 vcc, exec, s[10:11]
	s_cbranch_vccnz .LBB9_1377
; %bb.1368:
	global_load_ubyte v3, v[4:5], off
	s_movk_i32 s10, 0x7f
	s_waitcnt vmcnt(0)
	v_cmp_lt_i16_e32 vcc, s10, v3
	s_mov_b64 s[10:11], 0
	s_and_saveexec_b64 s[12:13], vcc
	s_xor_b64 s[12:13], exec, s[12:13]
	s_cbranch_execz .LBB9_1372
; %bb.1369:
	s_movk_i32 s10, 0x80
	v_cmp_eq_u16_e32 vcc, s10, v3
	s_mov_b64 s[10:11], -1
	s_and_saveexec_b64 s[14:15], vcc
; %bb.1370:
	s_xor_b64 s[10:11], exec, -1
; %bb.1371:
	s_or_b64 exec, exec, s[14:15]
	s_and_b64 s[10:11], s[10:11], exec
.LBB9_1372:
	s_or_saveexec_b64 s[12:13], s[12:13]
	v_bfrev_b32_e32 v16, 4
	v_mov_b32_e32 v17, 0x7ff80000
	s_xor_b64 exec, exec, s[12:13]
; %bb.1373:
	v_cmp_ne_u16_e32 vcc, 0, v3
	s_andn2_b64 s[10:11], s[10:11], exec
	s_and_b64 s[14:15], vcc, exec
	v_mov_b64_e32 v[16:17], 0
	s_or_b64 s[10:11], s[10:11], s[14:15]
; %bb.1374:
	s_or_b64 exec, exec, s[12:13]
	s_and_saveexec_b64 s[12:13], s[10:11]
	s_cbranch_execz .LBB9_1376
; %bb.1375:
	v_lshlrev_b32_e32 v7, 24, v3
	v_and_b32_e32 v3, 0xffff, v3
	v_and_b32_e32 v9, 7, v3
	v_ffbh_u32_e32 v13, v9
	v_min_u32_e32 v13, 32, v13
	v_subrev_u32_e32 v15, 28, v13
	v_bfe_u32 v11, v3, 3, 4
	v_lshlrev_b32_e32 v3, v15, v3
	v_sub_u32_e32 v13, 29, v13
	v_and_b32_e32 v3, 7, v3
	v_cmp_eq_u32_e32 vcc, 0, v11
	v_and_b32_e32 v7, 0x80000000, v7
	s_nop 0
	v_cndmask_b32_e32 v11, v11, v13, vcc
	v_cndmask_b32_e32 v3, v9, v3, vcc
	v_mov_b32_e32 v9, 0x3b800000
	v_lshlrev_b32_e32 v3, 20, v3
	v_lshl_add_u32 v9, v11, 23, v9
	v_or3_b32 v3, v7, v9, v3
	v_cvt_f64_f32_e32 v[16:17], v3
.LBB9_1376:
	s_or_b64 exec, exec, s[12:13]
.LBB9_1377:
	s_mov_b64 s[10:11], -1
.LBB9_1378:
	s_branch .LBB9_1409
.LBB9_1379:
	s_cmp_gt_i32 s18, 22
	s_cbranch_scc0 .LBB9_1391
; %bb.1380:
	s_cmp_lt_i32 s18, 24
	s_cbranch_scc1 .LBB9_1392
; %bb.1381:
	s_cmp_gt_i32 s18, 24
	s_cbranch_scc0 .LBB9_1393
; %bb.1382:
	global_load_ubyte v3, v[4:5], off
	s_movk_i32 s8, 0x7f
	s_waitcnt vmcnt(0)
	v_cmp_lt_i16_e32 vcc, s8, v3
	s_mov_b64 s[8:9], 0
	s_and_saveexec_b64 s[10:11], vcc
	s_xor_b64 s[10:11], exec, s[10:11]
	s_cbranch_execz .LBB9_1386
; %bb.1383:
	s_movk_i32 s8, 0x80
	v_cmp_eq_u16_e32 vcc, s8, v3
	s_mov_b64 s[8:9], -1
	s_and_saveexec_b64 s[12:13], vcc
; %bb.1384:
	s_xor_b64 s[8:9], exec, -1
; %bb.1385:
	s_or_b64 exec, exec, s[12:13]
	s_and_b64 s[8:9], s[8:9], exec
.LBB9_1386:
	s_or_saveexec_b64 s[10:11], s[10:11]
	v_bfrev_b32_e32 v16, 4
	v_mov_b32_e32 v17, 0x7ff80000
	s_xor_b64 exec, exec, s[10:11]
; %bb.1387:
	v_cmp_ne_u16_e32 vcc, 0, v3
	s_andn2_b64 s[8:9], s[8:9], exec
	s_and_b64 s[12:13], vcc, exec
	v_mov_b64_e32 v[16:17], 0
	s_or_b64 s[8:9], s[8:9], s[12:13]
; %bb.1388:
	s_or_b64 exec, exec, s[10:11]
	s_and_saveexec_b64 s[10:11], s[8:9]
	s_cbranch_execz .LBB9_1390
; %bb.1389:
	v_lshlrev_b32_e32 v7, 24, v3
	v_and_b32_e32 v3, 0xffff, v3
	v_and_b32_e32 v9, 3, v3
	v_ffbh_u32_e32 v13, v9
	v_min_u32_e32 v13, 32, v13
	v_subrev_u32_e32 v15, 29, v13
	v_bfe_u32 v11, v3, 2, 5
	v_lshlrev_b32_e32 v3, v15, v3
	v_sub_u32_e32 v13, 30, v13
	v_and_b32_e32 v3, 3, v3
	v_cmp_eq_u32_e32 vcc, 0, v11
	v_and_b32_e32 v7, 0x80000000, v7
	s_nop 0
	v_cndmask_b32_e32 v11, v11, v13, vcc
	v_cndmask_b32_e32 v3, v9, v3, vcc
	v_mov_b32_e32 v9, 0x37800000
	v_lshlrev_b32_e32 v3, 21, v3
	v_lshl_add_u32 v9, v11, 23, v9
	v_or3_b32 v3, v7, v9, v3
	v_cvt_f64_f32_e32 v[16:17], v3
.LBB9_1390:
	s_or_b64 exec, exec, s[10:11]
	s_mov_b64 s[8:9], 0
	s_branch .LBB9_1394
.LBB9_1391:
	s_mov_b64 s[8:9], -1
                                        ; implicit-def: $vgpr16_vgpr17
	s_branch .LBB9_1400
.LBB9_1392:
	s_mov_b64 s[8:9], -1
                                        ; implicit-def: $vgpr16_vgpr17
	s_branch .LBB9_1397
.LBB9_1393:
	s_mov_b64 s[8:9], -1
                                        ; implicit-def: $vgpr16_vgpr17
.LBB9_1394:
	s_and_b64 vcc, exec, s[8:9]
	s_cbranch_vccz .LBB9_1396
; %bb.1395:
	global_load_ubyte v3, v[4:5], off
	s_mov_b32 s8, 0x7f800000
	s_waitcnt vmcnt(0)
	v_lshlrev_b32_e32 v3, 24, v3
	v_and_b32_e32 v7, 0x7f000000, v3
	v_ffbh_u32_e32 v9, v7
	v_min_u32_e32 v9, 32, v9
	v_sub_u32_e64 v9, v9, 4 clamp
	v_lshlrev_b32_e32 v13, v9, v7
	v_lshlrev_b32_e32 v9, 23, v9
	v_lshrrev_b32_e32 v13, 4, v13
	v_add_u32_e32 v11, 0x1000000, v7
	v_sub_u32_e32 v9, v13, v9
	v_ashrrev_i32_e32 v11, 8, v11
	v_add_u32_e32 v9, 0x3c000000, v9
	v_and_or_b32 v9, v11, s8, v9
	v_cmp_ne_u32_e32 vcc, 0, v7
	s_brev_b32 s8, 1
	s_nop 0
	v_cndmask_b32_e32 v7, 0, v9, vcc
	v_and_or_b32 v3, v3, s8, v7
	v_cvt_f64_f32_e32 v[16:17], v3
.LBB9_1396:
	s_mov_b64 s[8:9], 0
.LBB9_1397:
	s_andn2_b64 vcc, exec, s[8:9]
	s_cbranch_vccnz .LBB9_1399
; %bb.1398:
	global_load_ubyte v3, v[4:5], off
	s_movk_i32 s8, 0x7f00
	s_brev_b32 s9, 16
	s_waitcnt vmcnt(0)
	v_lshlrev_b16_e32 v7, 8, v3
	v_lshlrev_b32_e32 v3, 25, v3
	v_lshrrev_b32_e32 v9, 4, v3
	v_and_or_b32 v11, v7, s8, 0.5
	v_or_b32_e32 v9, 0x70000000, v9
	v_add_f32_e32 v11, -0.5, v11
	v_mul_f32_e32 v9, 0x7800000, v9
	v_cmp_gt_u32_e32 vcc, s9, v3
	v_bfe_i32 v7, v7, 0, 16
	s_brev_b32 s8, 1
	v_cndmask_b32_e32 v3, v9, v11, vcc
	v_and_or_b32 v3, v7, s8, v3
	v_cvt_f64_f32_e32 v[16:17], v3
.LBB9_1399:
	s_mov_b64 s[8:9], 0
	s_mov_b64 s[10:11], -1
.LBB9_1400:
	s_andn2_b64 vcc, exec, s[8:9]
	s_mov_b64 s[8:9], 0
	s_cbranch_vccnz .LBB9_1409
; %bb.1401:
	s_cmp_gt_i32 s18, 14
	s_cbranch_scc0 .LBB9_1404
; %bb.1402:
	s_cmp_eq_u32 s18, 15
	s_cbranch_scc0 .LBB9_1405
; %bb.1403:
	global_load_ushort v3, v[4:5], off
	s_mov_b64 s[0:1], 0
	s_mov_b64 s[10:11], -1
	s_waitcnt vmcnt(0)
	v_lshlrev_b32_e32 v3, 16, v3
	v_cvt_f64_f32_e32 v[16:17], v3
	s_branch .LBB9_1406
.LBB9_1404:
	s_mov_b64 s[12:13], -1
                                        ; implicit-def: $vgpr16_vgpr17
	s_branch .LBB9_1407
.LBB9_1405:
	s_mov_b64 s[0:1], -1
                                        ; implicit-def: $vgpr16_vgpr17
.LBB9_1406:
	s_mov_b64 s[12:13], 0
.LBB9_1407:
	s_and_b64 vcc, exec, s[12:13]
	s_cbranch_vccz .LBB9_1409
; %bb.1408:
	s_cmp_lg_u32 s18, 11
	s_mov_b64 s[8:9], -1
	s_cselect_b64 s[0:1], -1, 0
.LBB9_1409:
	s_and_b64 vcc, exec, s[0:1]
	s_cbranch_vccnz .LBB9_1484
; %bb.1410:
	s_andn2_b64 vcc, exec, s[8:9]
	s_cbranch_vccnz .LBB9_1412
.LBB9_1411:
	global_load_ubyte v3, v[4:5], off
	v_mov_b32_e32 v7, 0x3ff00000
	v_mov_b32_e32 v16, 0
	s_mov_b64 s[10:11], -1
	s_waitcnt vmcnt(0)
	v_cmp_ne_u16_e32 vcc, 0, v3
	s_nop 1
	v_cndmask_b32_e32 v17, 0, v7, vcc
.LBB9_1412:
	s_branch .LBB9_1339
.LBB9_1413:
	s_and_b32 s8, 0xffff, s17
	s_cmp_lt_i32 s8, 5
	s_cbranch_scc1 .LBB9_1418
; %bb.1414:
	s_cmp_lt_i32 s8, 8
	s_cbranch_scc1 .LBB9_1419
; %bb.1415:
	;; [unrolled: 3-line block ×3, first 2 shown]
	s_cmp_gt_i32 s8, 9
	s_cbranch_scc0 .LBB9_1421
; %bb.1417:
	global_load_dwordx2 v[16:17], v[4:5], off
	s_mov_b64 s[0:1], 0
	s_branch .LBB9_1422
.LBB9_1418:
                                        ; implicit-def: $vgpr16_vgpr17
	s_branch .LBB9_1440
.LBB9_1419:
	s_mov_b64 s[0:1], -1
                                        ; implicit-def: $vgpr16_vgpr17
	s_branch .LBB9_1428
.LBB9_1420:
	s_mov_b64 s[0:1], -1
                                        ; implicit-def: $vgpr16_vgpr17
	s_branch .LBB9_1425
.LBB9_1421:
	s_mov_b64 s[0:1], -1
                                        ; implicit-def: $vgpr16_vgpr17
.LBB9_1422:
	s_andn2_b64 vcc, exec, s[0:1]
	s_cbranch_vccnz .LBB9_1424
; %bb.1423:
	global_load_dword v3, v[4:5], off
	s_waitcnt vmcnt(0)
	v_cvt_f64_f32_e32 v[16:17], v3
.LBB9_1424:
	s_mov_b64 s[0:1], 0
.LBB9_1425:
	s_andn2_b64 vcc, exec, s[0:1]
	s_cbranch_vccnz .LBB9_1427
; %bb.1426:
	global_load_dword v3, v[4:5], off
	s_waitcnt vmcnt(0)
	v_cvt_f32_f16_e32 v3, v3
	v_cvt_f64_f32_e32 v[16:17], v3
.LBB9_1427:
	s_mov_b64 s[0:1], 0
.LBB9_1428:
	s_andn2_b64 vcc, exec, s[0:1]
	s_cbranch_vccnz .LBB9_1439
; %bb.1429:
	s_cmp_lt_i32 s8, 6
	s_cbranch_scc1 .LBB9_1432
; %bb.1430:
	s_cmp_gt_i32 s8, 6
	s_cbranch_scc0 .LBB9_1433
; %bb.1431:
	global_load_dwordx2 v[16:17], v[4:5], off
	s_mov_b64 s[0:1], 0
	s_branch .LBB9_1434
.LBB9_1432:
	s_mov_b64 s[0:1], -1
                                        ; implicit-def: $vgpr16_vgpr17
	s_branch .LBB9_1437
.LBB9_1433:
	s_mov_b64 s[0:1], -1
                                        ; implicit-def: $vgpr16_vgpr17
.LBB9_1434:
	s_andn2_b64 vcc, exec, s[0:1]
	s_cbranch_vccnz .LBB9_1436
; %bb.1435:
	global_load_dword v3, v[4:5], off
	s_waitcnt vmcnt(0)
	v_cvt_f64_f32_e32 v[16:17], v3
.LBB9_1436:
	s_mov_b64 s[0:1], 0
.LBB9_1437:
	s_andn2_b64 vcc, exec, s[0:1]
	s_cbranch_vccnz .LBB9_1439
; %bb.1438:
	global_load_ushort v3, v[4:5], off
	s_waitcnt vmcnt(0)
	v_cvt_f32_f16_e32 v3, v3
	v_cvt_f64_f32_e32 v[16:17], v3
.LBB9_1439:
	s_cbranch_execnz .LBB9_1459
.LBB9_1440:
	s_cmp_lt_i32 s8, 2
	s_cbranch_scc1 .LBB9_1444
; %bb.1441:
	s_cmp_lt_i32 s8, 3
	s_cbranch_scc1 .LBB9_1445
; %bb.1442:
	s_cmp_gt_i32 s8, 3
	s_cbranch_scc0 .LBB9_1446
; %bb.1443:
	global_load_dwordx2 v[16:17], v[4:5], off
	s_mov_b64 s[0:1], 0
	s_waitcnt vmcnt(0)
	v_cvt_f64_i32_e32 v[18:19], v17
	v_cvt_f64_u32_e32 v[16:17], v16
	v_ldexp_f64 v[18:19], v[18:19], 32
	v_add_f64 v[16:17], v[18:19], v[16:17]
	s_branch .LBB9_1447
.LBB9_1444:
	s_mov_b64 s[0:1], -1
                                        ; implicit-def: $vgpr16_vgpr17
	s_branch .LBB9_1453
.LBB9_1445:
	s_mov_b64 s[0:1], -1
                                        ; implicit-def: $vgpr16_vgpr17
	s_branch .LBB9_1450
.LBB9_1446:
	s_mov_b64 s[0:1], -1
                                        ; implicit-def: $vgpr16_vgpr17
.LBB9_1447:
	s_andn2_b64 vcc, exec, s[0:1]
	s_cbranch_vccnz .LBB9_1449
; %bb.1448:
	global_load_dword v3, v[4:5], off
	s_waitcnt vmcnt(0)
	v_cvt_f64_i32_e32 v[16:17], v3
.LBB9_1449:
	s_mov_b64 s[0:1], 0
.LBB9_1450:
	s_andn2_b64 vcc, exec, s[0:1]
	s_cbranch_vccnz .LBB9_1452
; %bb.1451:
	global_load_sshort v3, v[4:5], off
	s_waitcnt vmcnt(0)
	v_cvt_f64_i32_e32 v[16:17], v3
.LBB9_1452:
	s_mov_b64 s[0:1], 0
.LBB9_1453:
	s_andn2_b64 vcc, exec, s[0:1]
	s_cbranch_vccnz .LBB9_1459
; %bb.1454:
	s_cmp_gt_i32 s8, 0
	s_cbranch_scc0 .LBB9_1456
; %bb.1455:
	global_load_sbyte v3, v[4:5], off
	s_mov_b64 s[0:1], 0
	s_waitcnt vmcnt(0)
	v_cvt_f64_i32_e32 v[16:17], v3
	s_branch .LBB9_1457
.LBB9_1456:
	s_mov_b64 s[0:1], -1
                                        ; implicit-def: $vgpr16_vgpr17
.LBB9_1457:
	s_andn2_b64 vcc, exec, s[0:1]
	s_cbranch_vccnz .LBB9_1459
; %bb.1458:
	global_load_ubyte v3, v[4:5], off
	s_waitcnt vmcnt(0)
	v_cvt_f64_u32_e32 v[16:17], v3
.LBB9_1459:
.LBB9_1460:
	s_mov_b32 s0, 0
	s_mov_b32 s1, 0x40200000
	s_waitcnt vmcnt(0)
	v_cmp_le_f64_e64 s[0:1], |v[16:17]|, s[0:1]
                                        ; implicit-def: $vgpr4_vgpr5
	s_and_saveexec_b64 s[8:9], s[0:1]
	s_xor_b64 s[0:1], exec, s[8:9]
	s_cbranch_execz .LBB9_1466
; %bb.1461:
	s_mov_b32 s8, 0xc3c4014
	v_fma_f64 v[4:5], |v[16:17]|, 0.5, -2.0
	v_mov_b32_e32 v18, 0xc38a0576
	v_mov_b32_e32 v19, 0xbc7857d0
	s_mov_b32 s9, 0x3c499f2a
	v_fmac_f64_e32 v[18:19], s[8:9], v[4:5]
	v_mov_b32_e32 v20, 0xc3c4014
	v_mov_b32_e32 v21, 0xbc499f2a
	s_mov_b32 s8, 0xe593bfac
	v_fmac_f64_e32 v[20:21], v[4:5], v[18:19]
	s_mov_b32 s9, 0x3ca663e3
	v_add_f64 v[20:21], v[20:21], s[8:9]
	s_mov_b32 s8, 0x7e0d1573
	v_fma_f64 v[18:19], v[4:5], v[20:21], -v[18:19]
	s_mov_b32 s9, 0xbcd3eaaa
	v_add_f64 v[18:19], v[18:19], s[8:9]
	s_mov_b32 s8, 0x615290c
	v_fma_f64 v[20:21], v[4:5], v[18:19], -v[20:21]
	;; [unrolled: 4-line block ×26, first 2 shown]
	s_mov_b32 s9, 0x3fd02a63
	v_add_f64 v[4:5], v[4:5], s[8:9]
	v_add_f64 v[4:5], v[4:5], -v[20:21]
	s_mov_b32 s8, 0x652b82fe
	v_mul_f64 v[4:5], v[4:5], 0.5
	s_mov_b32 s9, 0x3ff71547
	v_mul_f64 v[18:19], |v[16:17]|, v[4:5]
	v_mul_f64 v[4:5], |v[16:17]|, s[8:9]
	s_mov_b32 s8, 0xfefa39ef
	v_rndne_f64_e32 v[4:5], v[4:5]
	s_mov_b32 s9, 0xbfe62e42
	v_fma_f64 v[20:21], v[4:5], s[8:9], |v[16:17]|
	s_mov_b32 s8, 0x3b39803f
	s_mov_b32 s9, 0xbc7abc9e
	v_fmac_f64_e32 v[20:21], s[8:9], v[4:5]
	s_mov_b32 s8, 0x6a5dcb37
	v_mov_b32_e32 v22, 0xfca7ab0c
	v_mov_b32_e32 v23, 0x3e928af3
	s_mov_b32 s9, 0x3e5ade15
	v_fmac_f64_e32 v[22:23], s[8:9], v[20:21]
	v_mov_b32_e32 v24, 0x623fde64
	v_mov_b32_e32 v25, 0x3ec71dee
	v_fmac_f64_e32 v[24:25], v[20:21], v[22:23]
	v_mov_b32_e32 v22, 0x7c89e6b0
	v_mov_b32_e32 v23, 0x3efa0199
	;; [unrolled: 3-line block ×8, first 2 shown]
	v_fmac_f64_e32 v[22:23], v[20:21], v[24:25]
	v_fma_f64 v[22:23], v[20:21], v[22:23], 1.0
	v_cmp_ngt_f64_e32 vcc, 0, v[16:17]
	v_fma_f64 v[20:21], v[20:21], v[22:23], 1.0
	v_cvt_i32_f64_e32 v3, v[4:5]
                                        ; implicit-def: $vgpr4_vgpr5
	s_and_saveexec_b64 s[8:9], vcc
	s_xor_b64 s[8:9], exec, s[8:9]
; %bb.1462:
	s_mov_b32 s10, 0
	s_mov_b32 s11, 0x40900000
	v_ldexp_f64 v[4:5], v[20:21], v3
	v_mov_b32_e32 v3, 0x7ff00000
	v_cmp_ngt_f64_e64 vcc, |v[16:17]|, s[10:11]
                                        ; implicit-def: $vgpr20_vgpr21
                                        ; implicit-def: $vgpr16_vgpr17
	s_nop 1
	v_cndmask_b32_e32 v5, v3, v5, vcc
	v_cndmask_b32_e32 v4, 0, v4, vcc
	v_mul_f64 v[4:5], v[4:5], v[18:19]
                                        ; implicit-def: $vgpr3
                                        ; implicit-def: $vgpr18_vgpr19
; %bb.1463:
	s_andn2_saveexec_b64 s[8:9], s[8:9]
; %bb.1464:
	s_mov_b32 s10, 0
	s_mov_b32 s11, 0x40900000
	v_ldexp_f64 v[4:5], -v[20:21], v3
	v_mov_b32_e32 v3, 0xfff00000
	v_cmp_ngt_f64_e64 vcc, |v[16:17]|, s[10:11]
	s_nop 1
	v_cndmask_b32_e32 v5, v3, v5, vcc
	v_cndmask_b32_e32 v4, 0, v4, vcc
	v_mul_f64 v[4:5], v[4:5], v[18:19]
; %bb.1465:
	s_or_b64 exec, exec, s[8:9]
                                        ; implicit-def: $vgpr16_vgpr17
.LBB9_1466:
	s_andn2_saveexec_b64 s[8:9], s[0:1]
	s_cbranch_execz .LBB9_1472
; %bb.1467:
	s_mov_b32 s0, 0
	v_and_b32_e32 v5, 0x7fffffff, v17
	v_mov_b32_e32 v4, v16
	s_mov_b32 s1, 0x40400000
	v_div_scale_f64 v[18:19], s[10:11], v[4:5], v[4:5], s[0:1]
	v_rcp_f64_e32 v[20:21], v[18:19]
	v_div_scale_f64 v[4:5], vcc, s[0:1], v[4:5], s[0:1]
	v_mov_b32_e32 v24, 0xfca7ab0c
	v_fma_f64 v[22:23], -v[18:19], v[20:21], 1.0
	v_fmac_f64_e32 v[20:21], v[20:21], v[22:23]
	v_fma_f64 v[22:23], -v[18:19], v[20:21], 1.0
	v_fmac_f64_e32 v[20:21], v[20:21], v[22:23]
	v_mul_f64 v[22:23], v[4:5], v[20:21]
	v_fma_f64 v[4:5], -v[18:19], v[22:23], v[4:5]
	v_div_fmas_f64 v[4:5], v[4:5], v[20:21], v[22:23]
	v_div_fixup_f64 v[4:5], v[4:5], |v[16:17]|, s[0:1]
	s_mov_b32 s0, 0xb352e8e6
	v_add_f64 v[4:5], v[4:5], -2.0
	v_mov_b32_e32 v18, 0xea87b950
	v_mov_b32_e32 v19, 0x3c545b8a
	s_mov_b32 s1, 0x3c61556d
	v_fmac_f64_e32 v[18:19], s[0:1], v[4:5]
	v_mov_b32_e32 v20, 0xb352e8e6
	v_mov_b32_e32 v21, 0xbc61556d
	s_mov_b32 s0, 0xb2532277
	v_fmac_f64_e32 v[20:21], v[4:5], v[18:19]
	s_mov_b32 s1, 0xbc8acea3
	v_add_f64 v[20:21], v[20:21], s[0:1]
	s_mov_b32 s0, 0x9c773320
	v_fma_f64 v[18:19], v[4:5], v[20:21], -v[18:19]
	s_mov_b32 s1, 0xbc82806c
	v_add_f64 v[18:19], v[18:19], s[0:1]
	s_mov_b32 s0, 0xfceb588a
	v_fma_f64 v[20:21], v[4:5], v[18:19], -v[20:21]
	;; [unrolled: 4-line block ×22, first 2 shown]
	s_mov_b32 s1, 0x3fe8ea18
	v_add_f64 v[4:5], v[4:5], s[0:1]
	s_mov_b32 s0, 0x652b82fe
	s_mov_b32 s1, 0x3ff71547
	v_mul_f64 v[18:19], |v[16:17]|, s[0:1]
	s_mov_b32 s0, 0xfefa39ef
	v_rndne_f64_e32 v[18:19], v[18:19]
	s_mov_b32 s1, 0xbfe62e42
	v_fma_f64 v[22:23], v[18:19], s[0:1], |v[16:17]|
	s_mov_b32 s0, 0x3b39803f
	s_mov_b32 s1, 0xbc7abc9e
	v_fmac_f64_e32 v[22:23], s[0:1], v[18:19]
	s_mov_b32 s0, 0x6a5dcb37
	v_mov_b32_e32 v25, 0x3e928af3
	s_mov_b32 s1, 0x3e5ade15
	v_fmac_f64_e32 v[24:25], s[0:1], v[22:23]
	v_mov_b32_e32 v26, 0x623fde64
	v_mov_b32_e32 v27, 0x3ec71dee
	v_fmac_f64_e32 v[26:27], v[22:23], v[24:25]
	v_mov_b32_e32 v24, 0x7c89e6b0
	v_mov_b32_e32 v25, 0x3efa0199
	;; [unrolled: 3-line block ×8, first 2 shown]
	v_fmac_f64_e32 v[24:25], v[22:23], v[26:27]
	v_fma_f64 v[24:25], v[22:23], v[24:25], 1.0
	s_mov_b32 s0, 0
	v_fma_f64 v[22:23], v[22:23], v[24:25], 1.0
	v_cvt_i32_f64_e32 v3, v[18:19]
	s_mov_b32 s1, 0x40900000
	v_ldexp_f64 v[18:19], v[22:23], v3
	v_mov_b32_e32 v3, 0x7ff00000
	v_cmp_ngt_f64_e64 s[0:1], |v[16:17]|, s[0:1]
	v_cmp_ngt_f64_e32 vcc, 0, v[16:17]
	v_add_f64 v[20:21], v[4:5], -v[20:21]
	v_cndmask_b32_e64 v19, v3, v19, s[0:1]
	v_cndmask_b32_e64 v18, 0, v18, s[0:1]
                                        ; implicit-def: $vgpr4_vgpr5
	s_and_saveexec_b64 s[0:1], vcc
	s_xor_b64 s[0:1], exec, s[0:1]
	s_cbranch_execz .LBB9_1469
; %bb.1468:
	s_mov_b32 s10, 0
	s_brev_b32 s11, 8
	v_mov_b32_e32 v3, 0x100
	v_cmp_lt_f64_e64 vcc, |v[16:17]|, s[10:11]
	v_mul_f64 v[20:21], v[20:21], 0.5
	v_mul_f64 v[18:19], v[18:19], v[20:21]
	v_cndmask_b32_e32 v3, 0, v3, vcc
	v_ldexp_f64 v[4:5], |v[16:17]|, v3
	v_rsq_f64_e32 v[16:17], v[4:5]
	v_mov_b32_e32 v3, 0xffffff80
	v_cndmask_b32_e32 v3, 0, v3, vcc
	v_mul_f64 v[20:21], v[4:5], v[16:17]
	v_mul_f64 v[16:17], v[16:17], 0.5
	v_fma_f64 v[22:23], -v[16:17], v[20:21], 0.5
	v_fmac_f64_e32 v[20:21], v[20:21], v[22:23]
	v_fma_f64 v[24:25], -v[20:21], v[20:21], v[4:5]
	v_fmac_f64_e32 v[16:17], v[16:17], v[22:23]
	v_fmac_f64_e32 v[20:21], v[24:25], v[16:17]
	v_fma_f64 v[22:23], -v[20:21], v[20:21], v[4:5]
	v_fmac_f64_e32 v[20:21], v[22:23], v[16:17]
	v_ldexp_f64 v[16:17], v[20:21], v3
	v_mov_b32_e32 v3, 0x260
	v_cmp_class_f64_e32 vcc, v[4:5], v3
	s_nop 1
	v_cndmask_b32_e32 v5, v17, v5, vcc
	v_cndmask_b32_e32 v4, v16, v4, vcc
	v_div_scale_f64 v[16:17], s[10:11], v[4:5], v[4:5], v[18:19]
	v_rcp_f64_e32 v[20:21], v[16:17]
	s_nop 0
	v_fma_f64 v[22:23], -v[16:17], v[20:21], 1.0
	v_fmac_f64_e32 v[20:21], v[20:21], v[22:23]
	v_fma_f64 v[22:23], -v[16:17], v[20:21], 1.0
	v_fmac_f64_e32 v[20:21], v[20:21], v[22:23]
	v_div_scale_f64 v[22:23], vcc, v[18:19], v[4:5], v[18:19]
	v_mul_f64 v[24:25], v[22:23], v[20:21]
	v_fma_f64 v[16:17], -v[16:17], v[24:25], v[22:23]
	s_nop 1
	v_div_fmas_f64 v[16:17], v[16:17], v[20:21], v[24:25]
	v_div_fixup_f64 v[4:5], v[16:17], v[4:5], v[18:19]
                                        ; implicit-def: $vgpr16_vgpr17
                                        ; implicit-def: $vgpr20_vgpr21
                                        ; implicit-def: $vgpr18_vgpr19
.LBB9_1469:
	s_andn2_saveexec_b64 s[0:1], s[0:1]
	s_cbranch_execz .LBB9_1471
; %bb.1470:
	s_mov_b32 s10, 0
	s_brev_b32 s11, 8
	v_mov_b32_e32 v3, 0x100
	v_cmp_lt_f64_e64 vcc, |v[16:17]|, s[10:11]
	s_nop 1
	v_cndmask_b32_e32 v3, 0, v3, vcc
	v_ldexp_f64 v[4:5], |v[16:17]|, v3
	v_rsq_f64_e32 v[16:17], v[4:5]
	v_mov_b32_e32 v3, 0xffffff80
	v_cndmask_b32_e32 v3, 0, v3, vcc
	v_mul_f64 v[22:23], v[4:5], v[16:17]
	v_mul_f64 v[16:17], v[16:17], 0.5
	v_fma_f64 v[24:25], -v[16:17], v[22:23], 0.5
	v_fmac_f64_e32 v[22:23], v[22:23], v[24:25]
	v_fma_f64 v[26:27], -v[22:23], v[22:23], v[4:5]
	v_fmac_f64_e32 v[16:17], v[16:17], v[24:25]
	v_fmac_f64_e32 v[22:23], v[26:27], v[16:17]
	v_fma_f64 v[24:25], -v[22:23], v[22:23], v[4:5]
	v_fmac_f64_e32 v[22:23], v[24:25], v[16:17]
	v_ldexp_f64 v[16:17], v[22:23], v3
	v_mov_b32_e32 v3, 0x260
	v_cmp_class_f64_e32 vcc, v[4:5], v3
	s_nop 1
	v_cndmask_b32_e32 v5, v17, v5, vcc
	v_cndmask_b32_e32 v4, v16, v4, vcc
	v_mul_f64 v[16:17], v[20:21], -0.5
	v_mul_f64 v[16:17], v[18:19], v[16:17]
	v_div_scale_f64 v[18:19], s[10:11], v[4:5], v[4:5], v[16:17]
	v_rcp_f64_e32 v[20:21], v[18:19]
	s_nop 0
	v_fma_f64 v[22:23], -v[18:19], v[20:21], 1.0
	v_fmac_f64_e32 v[20:21], v[20:21], v[22:23]
	v_fma_f64 v[22:23], -v[18:19], v[20:21], 1.0
	v_fmac_f64_e32 v[20:21], v[20:21], v[22:23]
	v_div_scale_f64 v[22:23], vcc, v[16:17], v[4:5], v[16:17]
	v_mul_f64 v[24:25], v[22:23], v[20:21]
	v_fma_f64 v[18:19], -v[18:19], v[24:25], v[22:23]
	s_nop 1
	v_div_fmas_f64 v[18:19], v[18:19], v[20:21], v[24:25]
	v_div_fixup_f64 v[4:5], v[18:19], v[4:5], v[16:17]
.LBB9_1471:
	s_or_b64 exec, exec, s[0:1]
.LBB9_1472:
	s_or_b64 exec, exec, s[8:9]
	v_mov_b32_e32 v9, 0
	s_cmp_lt_i32 s17, 11
	v_lshl_add_u64 v[8:9], s[6:7], 0, v[8:9]
	s_cbranch_scc1 .LBB9_1479
; %bb.1473:
	s_and_b32 s18, 0xffff, s17
	s_cmp_gt_i32 s18, 25
	s_mov_b64 s[8:9], 0
	s_cbranch_scc0 .LBB9_1481
; %bb.1474:
	s_cmp_gt_i32 s18, 28
	s_cbranch_scc0 .LBB9_1482
; %bb.1475:
	s_cmp_gt_i32 s18, 43
	;; [unrolled: 3-line block ×3, first 2 shown]
	s_cbranch_scc0 .LBB9_1485
; %bb.1477:
	s_cmp_eq_u32 s18, 46
	s_mov_b64 s[12:13], 0
	s_cbranch_scc0 .LBB9_1486
; %bb.1478:
	global_load_dword v3, v[8:9], off
	s_mov_b64 s[0:1], 0
	s_mov_b64 s[10:11], -1
	s_waitcnt vmcnt(0)
	v_lshlrev_b32_e32 v3, 16, v3
	v_cvt_f64_f32_e32 v[16:17], v3
	s_branch .LBB9_1487
.LBB9_1479:
	s_mov_b64 s[10:11], 0
                                        ; implicit-def: $vgpr16_vgpr17
	s_cbranch_execnz .LBB9_1553
.LBB9_1480:
	s_andn2_b64 vcc, exec, s[10:11]
	s_cbranch_vccnz .LBB9_1833
	s_branch .LBB9_1601
.LBB9_1481:
	s_mov_b64 s[12:13], -1
	s_mov_b64 s[10:11], 0
	s_mov_b64 s[0:1], 0
                                        ; implicit-def: $vgpr16_vgpr17
	s_branch .LBB9_1518
.LBB9_1482:
	s_mov_b64 s[12:13], -1
	s_mov_b64 s[10:11], 0
	s_mov_b64 s[0:1], 0
                                        ; implicit-def: $vgpr16_vgpr17
	s_branch .LBB9_1497
.LBB9_1483:
	s_mov_b64 s[12:13], -1
	s_mov_b64 s[10:11], 0
	s_mov_b64 s[0:1], 0
                                        ; implicit-def: $vgpr16_vgpr17
	s_branch .LBB9_1492
.LBB9_1484:
	s_trap 2
	s_or_b64 s[2:3], s[2:3], exec
	s_cbranch_execz .LBB9_1411
	s_branch .LBB9_1412
.LBB9_1485:
	s_mov_b64 s[12:13], -1
	s_mov_b64 s[10:11], 0
	s_mov_b64 s[0:1], 0
                                        ; implicit-def: $vgpr16_vgpr17
	s_branch .LBB9_1487
.LBB9_1486:
	s_mov_b64 s[0:1], -1
                                        ; implicit-def: $vgpr16_vgpr17
	s_mov_b64 s[10:11], 0
.LBB9_1487:
	s_and_b64 vcc, exec, s[12:13]
	s_cbranch_vccz .LBB9_1491
; %bb.1488:
	s_cmp_eq_u32 s18, 44
	s_cbranch_scc0 .LBB9_1490
; %bb.1489:
	global_load_ubyte v3, v[8:9], off
	s_movk_i32 s10, 0xff
	v_bfrev_b32_e32 v7, 4
	v_mov_b32_e32 v11, 0x7ff80000
	v_bfrev_b32_e32 v13, 28
	s_mov_b64 s[0:1], 0
	s_waitcnt vmcnt(0)
	v_lshlrev_b32_e32 v15, 23, v3
	v_cvt_f64_f32_e32 v[16:17], v15
	v_cmp_ne_u32_e32 vcc, s10, v3
	s_mov_b64 s[10:11], -1
	s_nop 0
	v_cndmask_b32_e32 v7, v7, v16, vcc
	v_cndmask_b32_e32 v11, v11, v17, vcc
	v_cmp_ne_u32_e32 vcc, 0, v3
	s_nop 1
	v_cndmask_b32_e32 v17, v13, v11, vcc
	v_cndmask_b32_e32 v16, 0, v7, vcc
	s_branch .LBB9_1491
.LBB9_1490:
	s_mov_b64 s[0:1], -1
                                        ; implicit-def: $vgpr16_vgpr17
.LBB9_1491:
	s_mov_b64 s[12:13], 0
.LBB9_1492:
	s_and_b64 vcc, exec, s[12:13]
	s_cbranch_vccz .LBB9_1496
; %bb.1493:
	s_cmp_eq_u32 s18, 29
	s_cbranch_scc0 .LBB9_1495
; %bb.1494:
	global_load_dwordx2 v[16:17], v[8:9], off
	s_mov_b64 s[0:1], 0
	s_mov_b64 s[10:11], -1
	s_mov_b64 s[12:13], 0
	s_waitcnt vmcnt(0)
	v_cvt_f64_u32_e32 v[18:19], v17
	v_cvt_f64_u32_e32 v[16:17], v16
	v_ldexp_f64 v[18:19], v[18:19], 32
	v_add_f64 v[16:17], v[18:19], v[16:17]
	s_branch .LBB9_1497
.LBB9_1495:
	s_mov_b64 s[0:1], -1
                                        ; implicit-def: $vgpr16_vgpr17
.LBB9_1496:
	s_mov_b64 s[12:13], 0
.LBB9_1497:
	s_and_b64 vcc, exec, s[12:13]
	s_cbranch_vccz .LBB9_1517
; %bb.1498:
	s_cmp_lt_i32 s18, 27
	s_cbranch_scc1 .LBB9_1501
; %bb.1499:
	s_cmp_gt_i32 s18, 27
	s_cbranch_scc0 .LBB9_1502
; %bb.1500:
	global_load_dword v3, v[8:9], off
	s_mov_b64 s[10:11], 0
	s_waitcnt vmcnt(0)
	v_cvt_f64_u32_e32 v[16:17], v3
	s_branch .LBB9_1503
.LBB9_1501:
	s_mov_b64 s[10:11], -1
                                        ; implicit-def: $vgpr16_vgpr17
	s_branch .LBB9_1506
.LBB9_1502:
	s_mov_b64 s[10:11], -1
                                        ; implicit-def: $vgpr16_vgpr17
.LBB9_1503:
	s_andn2_b64 vcc, exec, s[10:11]
	s_cbranch_vccnz .LBB9_1505
; %bb.1504:
	global_load_ushort v3, v[8:9], off
	s_waitcnt vmcnt(0)
	v_cvt_f64_u32_e32 v[16:17], v3
.LBB9_1505:
	s_mov_b64 s[10:11], 0
.LBB9_1506:
	s_andn2_b64 vcc, exec, s[10:11]
	s_cbranch_vccnz .LBB9_1516
; %bb.1507:
	global_load_ubyte v3, v[8:9], off
	s_movk_i32 s10, 0x7f
	s_waitcnt vmcnt(0)
	v_cmp_lt_i16_e32 vcc, s10, v3
	s_mov_b64 s[10:11], 0
	s_and_saveexec_b64 s[12:13], vcc
	s_xor_b64 s[12:13], exec, s[12:13]
	s_cbranch_execz .LBB9_1511
; %bb.1508:
	s_movk_i32 s10, 0x80
	v_cmp_eq_u16_e32 vcc, s10, v3
	s_mov_b64 s[10:11], -1
	s_and_saveexec_b64 s[14:15], vcc
; %bb.1509:
	s_xor_b64 s[10:11], exec, -1
; %bb.1510:
	s_or_b64 exec, exec, s[14:15]
	s_and_b64 s[10:11], s[10:11], exec
.LBB9_1511:
	s_or_saveexec_b64 s[12:13], s[12:13]
	v_bfrev_b32_e32 v16, 4
	v_mov_b32_e32 v17, 0x7ff80000
	s_xor_b64 exec, exec, s[12:13]
; %bb.1512:
	v_cmp_ne_u16_e32 vcc, 0, v3
	s_andn2_b64 s[10:11], s[10:11], exec
	s_and_b64 s[14:15], vcc, exec
	v_mov_b64_e32 v[16:17], 0
	s_or_b64 s[10:11], s[10:11], s[14:15]
; %bb.1513:
	s_or_b64 exec, exec, s[12:13]
	s_and_saveexec_b64 s[12:13], s[10:11]
	s_cbranch_execz .LBB9_1515
; %bb.1514:
	v_lshlrev_b32_e32 v7, 24, v3
	v_and_b32_e32 v3, 0xffff, v3
	v_and_b32_e32 v11, 7, v3
	v_ffbh_u32_e32 v15, v11
	v_min_u32_e32 v15, 32, v15
	v_subrev_u32_e32 v16, 28, v15
	v_bfe_u32 v13, v3, 3, 4
	v_lshlrev_b32_e32 v3, v16, v3
	v_sub_u32_e32 v15, 29, v15
	v_and_b32_e32 v3, 7, v3
	v_cmp_eq_u32_e32 vcc, 0, v13
	v_and_b32_e32 v7, 0x80000000, v7
	s_nop 0
	v_cndmask_b32_e32 v13, v13, v15, vcc
	v_cndmask_b32_e32 v3, v11, v3, vcc
	v_mov_b32_e32 v11, 0x3b800000
	v_lshlrev_b32_e32 v3, 20, v3
	v_lshl_add_u32 v11, v13, 23, v11
	v_or3_b32 v3, v7, v11, v3
	v_cvt_f64_f32_e32 v[16:17], v3
.LBB9_1515:
	s_or_b64 exec, exec, s[12:13]
.LBB9_1516:
	s_mov_b64 s[10:11], -1
.LBB9_1517:
	s_mov_b64 s[12:13], 0
.LBB9_1518:
	s_and_b64 vcc, exec, s[12:13]
	s_cbranch_vccz .LBB9_1549
; %bb.1519:
	s_cmp_gt_i32 s18, 22
	s_cbranch_scc0 .LBB9_1531
; %bb.1520:
	s_cmp_lt_i32 s18, 24
	s_cbranch_scc1 .LBB9_1532
; %bb.1521:
	s_cmp_gt_i32 s18, 24
	s_cbranch_scc0 .LBB9_1533
; %bb.1522:
	global_load_ubyte v3, v[8:9], off
	s_movk_i32 s8, 0x7f
	s_waitcnt vmcnt(0)
	v_cmp_lt_i16_e32 vcc, s8, v3
	s_mov_b64 s[8:9], 0
	s_and_saveexec_b64 s[10:11], vcc
	s_xor_b64 s[10:11], exec, s[10:11]
	s_cbranch_execz .LBB9_1526
; %bb.1523:
	s_movk_i32 s8, 0x80
	v_cmp_eq_u16_e32 vcc, s8, v3
	s_mov_b64 s[8:9], -1
	s_and_saveexec_b64 s[12:13], vcc
; %bb.1524:
	s_xor_b64 s[8:9], exec, -1
; %bb.1525:
	s_or_b64 exec, exec, s[12:13]
	s_and_b64 s[8:9], s[8:9], exec
.LBB9_1526:
	s_or_saveexec_b64 s[10:11], s[10:11]
	v_bfrev_b32_e32 v16, 4
	v_mov_b32_e32 v17, 0x7ff80000
	s_xor_b64 exec, exec, s[10:11]
; %bb.1527:
	v_cmp_ne_u16_e32 vcc, 0, v3
	s_andn2_b64 s[8:9], s[8:9], exec
	s_and_b64 s[12:13], vcc, exec
	v_mov_b64_e32 v[16:17], 0
	s_or_b64 s[8:9], s[8:9], s[12:13]
; %bb.1528:
	s_or_b64 exec, exec, s[10:11]
	s_and_saveexec_b64 s[10:11], s[8:9]
	s_cbranch_execz .LBB9_1530
; %bb.1529:
	v_lshlrev_b32_e32 v7, 24, v3
	v_and_b32_e32 v3, 0xffff, v3
	v_and_b32_e32 v11, 3, v3
	v_ffbh_u32_e32 v15, v11
	v_min_u32_e32 v15, 32, v15
	v_subrev_u32_e32 v16, 29, v15
	v_bfe_u32 v13, v3, 2, 5
	v_lshlrev_b32_e32 v3, v16, v3
	v_sub_u32_e32 v15, 30, v15
	v_and_b32_e32 v3, 3, v3
	v_cmp_eq_u32_e32 vcc, 0, v13
	v_and_b32_e32 v7, 0x80000000, v7
	s_nop 0
	v_cndmask_b32_e32 v13, v13, v15, vcc
	v_cndmask_b32_e32 v3, v11, v3, vcc
	v_mov_b32_e32 v11, 0x37800000
	v_lshlrev_b32_e32 v3, 21, v3
	v_lshl_add_u32 v11, v13, 23, v11
	v_or3_b32 v3, v7, v11, v3
	v_cvt_f64_f32_e32 v[16:17], v3
.LBB9_1530:
	s_or_b64 exec, exec, s[10:11]
	s_mov_b64 s[8:9], 0
	s_branch .LBB9_1534
.LBB9_1531:
	s_mov_b64 s[8:9], -1
                                        ; implicit-def: $vgpr16_vgpr17
	s_branch .LBB9_1540
.LBB9_1532:
	s_mov_b64 s[8:9], -1
                                        ; implicit-def: $vgpr16_vgpr17
	s_branch .LBB9_1537
.LBB9_1533:
	s_mov_b64 s[8:9], -1
                                        ; implicit-def: $vgpr16_vgpr17
.LBB9_1534:
	s_and_b64 vcc, exec, s[8:9]
	s_cbranch_vccz .LBB9_1536
; %bb.1535:
	global_load_ubyte v3, v[8:9], off
	s_mov_b32 s8, 0x7f800000
	s_waitcnt vmcnt(0)
	v_lshlrev_b32_e32 v3, 24, v3
	v_and_b32_e32 v7, 0x7f000000, v3
	v_ffbh_u32_e32 v11, v7
	v_min_u32_e32 v11, 32, v11
	v_sub_u32_e64 v11, v11, 4 clamp
	v_lshlrev_b32_e32 v15, v11, v7
	v_lshlrev_b32_e32 v11, 23, v11
	v_lshrrev_b32_e32 v15, 4, v15
	v_add_u32_e32 v13, 0x1000000, v7
	v_sub_u32_e32 v11, v15, v11
	v_ashrrev_i32_e32 v13, 8, v13
	v_add_u32_e32 v11, 0x3c000000, v11
	v_and_or_b32 v11, v13, s8, v11
	v_cmp_ne_u32_e32 vcc, 0, v7
	s_brev_b32 s8, 1
	s_nop 0
	v_cndmask_b32_e32 v7, 0, v11, vcc
	v_and_or_b32 v3, v3, s8, v7
	v_cvt_f64_f32_e32 v[16:17], v3
.LBB9_1536:
	s_mov_b64 s[8:9], 0
.LBB9_1537:
	s_andn2_b64 vcc, exec, s[8:9]
	s_cbranch_vccnz .LBB9_1539
; %bb.1538:
	global_load_ubyte v3, v[8:9], off
	s_movk_i32 s8, 0x7f00
	s_brev_b32 s9, 16
	s_waitcnt vmcnt(0)
	v_lshlrev_b16_e32 v7, 8, v3
	v_lshlrev_b32_e32 v3, 25, v3
	v_lshrrev_b32_e32 v11, 4, v3
	v_and_or_b32 v13, v7, s8, 0.5
	v_or_b32_e32 v11, 0x70000000, v11
	v_add_f32_e32 v13, -0.5, v13
	v_mul_f32_e32 v11, 0x7800000, v11
	v_cmp_gt_u32_e32 vcc, s9, v3
	v_bfe_i32 v7, v7, 0, 16
	s_brev_b32 s8, 1
	v_cndmask_b32_e32 v3, v11, v13, vcc
	v_and_or_b32 v3, v7, s8, v3
	v_cvt_f64_f32_e32 v[16:17], v3
.LBB9_1539:
	s_mov_b64 s[8:9], 0
	s_mov_b64 s[10:11], -1
.LBB9_1540:
	s_andn2_b64 vcc, exec, s[8:9]
	s_mov_b64 s[8:9], 0
	s_cbranch_vccnz .LBB9_1549
; %bb.1541:
	s_cmp_gt_i32 s18, 14
	s_cbranch_scc0 .LBB9_1544
; %bb.1542:
	s_cmp_eq_u32 s18, 15
	s_cbranch_scc0 .LBB9_1545
; %bb.1543:
	global_load_ushort v3, v[8:9], off
	s_mov_b64 s[0:1], 0
	s_mov_b64 s[10:11], -1
	s_waitcnt vmcnt(0)
	v_lshlrev_b32_e32 v3, 16, v3
	v_cvt_f64_f32_e32 v[16:17], v3
	s_branch .LBB9_1546
.LBB9_1544:
	s_mov_b64 s[12:13], -1
                                        ; implicit-def: $vgpr16_vgpr17
	s_branch .LBB9_1547
.LBB9_1545:
	s_mov_b64 s[0:1], -1
                                        ; implicit-def: $vgpr16_vgpr17
.LBB9_1546:
	s_mov_b64 s[12:13], 0
.LBB9_1547:
	s_and_b64 vcc, exec, s[12:13]
	s_cbranch_vccz .LBB9_1549
; %bb.1548:
	s_cmp_lg_u32 s18, 11
	s_mov_b64 s[8:9], -1
	s_cselect_b64 s[0:1], -1, 0
.LBB9_1549:
	s_and_b64 vcc, exec, s[0:1]
	s_cbranch_vccnz .LBB9_1624
; %bb.1550:
	s_andn2_b64 vcc, exec, s[8:9]
	s_cbranch_vccnz .LBB9_1552
.LBB9_1551:
	global_load_ubyte v3, v[8:9], off
	v_mov_b32_e32 v7, 0x3ff00000
	v_mov_b32_e32 v16, 0
	s_mov_b64 s[10:11], -1
	s_waitcnt vmcnt(0)
	v_cmp_ne_u16_e32 vcc, 0, v3
	s_nop 1
	v_cndmask_b32_e32 v17, 0, v7, vcc
.LBB9_1552:
	s_branch .LBB9_1480
.LBB9_1553:
	s_and_b32 s8, 0xffff, s17
	s_cmp_lt_i32 s8, 5
	s_cbranch_scc1 .LBB9_1558
; %bb.1554:
	s_cmp_lt_i32 s8, 8
	s_cbranch_scc1 .LBB9_1559
; %bb.1555:
	;; [unrolled: 3-line block ×3, first 2 shown]
	s_cmp_gt_i32 s8, 9
	s_cbranch_scc0 .LBB9_1561
; %bb.1557:
	global_load_dwordx2 v[16:17], v[8:9], off
	s_mov_b64 s[0:1], 0
	s_branch .LBB9_1562
.LBB9_1558:
	s_mov_b64 s[0:1], -1
                                        ; implicit-def: $vgpr16_vgpr17
	s_branch .LBB9_1580
.LBB9_1559:
	s_mov_b64 s[0:1], -1
                                        ; implicit-def: $vgpr16_vgpr17
	s_branch .LBB9_1568
.LBB9_1560:
	s_mov_b64 s[0:1], -1
                                        ; implicit-def: $vgpr16_vgpr17
	s_branch .LBB9_1565
.LBB9_1561:
	s_mov_b64 s[0:1], -1
                                        ; implicit-def: $vgpr16_vgpr17
.LBB9_1562:
	s_andn2_b64 vcc, exec, s[0:1]
	s_cbranch_vccnz .LBB9_1564
; %bb.1563:
	global_load_dword v3, v[8:9], off
	s_waitcnt vmcnt(0)
	v_cvt_f64_f32_e32 v[16:17], v3
.LBB9_1564:
	s_mov_b64 s[0:1], 0
.LBB9_1565:
	s_andn2_b64 vcc, exec, s[0:1]
	s_cbranch_vccnz .LBB9_1567
; %bb.1566:
	global_load_dword v3, v[8:9], off
	s_waitcnt vmcnt(0)
	v_cvt_f32_f16_e32 v3, v3
	v_cvt_f64_f32_e32 v[16:17], v3
.LBB9_1567:
	s_mov_b64 s[0:1], 0
.LBB9_1568:
	s_andn2_b64 vcc, exec, s[0:1]
	s_cbranch_vccnz .LBB9_1579
; %bb.1569:
	s_cmp_lt_i32 s8, 6
	s_cbranch_scc1 .LBB9_1572
; %bb.1570:
	s_cmp_gt_i32 s8, 6
	s_cbranch_scc0 .LBB9_1573
; %bb.1571:
	global_load_dwordx2 v[16:17], v[8:9], off
	s_mov_b64 s[0:1], 0
	s_branch .LBB9_1574
.LBB9_1572:
	s_mov_b64 s[0:1], -1
                                        ; implicit-def: $vgpr16_vgpr17
	s_branch .LBB9_1577
.LBB9_1573:
	s_mov_b64 s[0:1], -1
                                        ; implicit-def: $vgpr16_vgpr17
.LBB9_1574:
	s_andn2_b64 vcc, exec, s[0:1]
	s_cbranch_vccnz .LBB9_1576
; %bb.1575:
	global_load_dword v3, v[8:9], off
	s_waitcnt vmcnt(0)
	v_cvt_f64_f32_e32 v[16:17], v3
.LBB9_1576:
	s_mov_b64 s[0:1], 0
.LBB9_1577:
	s_andn2_b64 vcc, exec, s[0:1]
	s_cbranch_vccnz .LBB9_1579
; %bb.1578:
	global_load_ushort v3, v[8:9], off
	s_waitcnt vmcnt(0)
	v_cvt_f32_f16_e32 v3, v3
	v_cvt_f64_f32_e32 v[16:17], v3
.LBB9_1579:
	s_mov_b64 s[0:1], 0
.LBB9_1580:
	s_andn2_b64 vcc, exec, s[0:1]
	s_cbranch_vccnz .LBB9_1600
; %bb.1581:
	s_cmp_lt_i32 s8, 2
	s_cbranch_scc1 .LBB9_1585
; %bb.1582:
	s_cmp_lt_i32 s8, 3
	s_cbranch_scc1 .LBB9_1586
; %bb.1583:
	s_cmp_gt_i32 s8, 3
	s_cbranch_scc0 .LBB9_1587
; %bb.1584:
	global_load_dwordx2 v[16:17], v[8:9], off
	s_mov_b64 s[0:1], 0
	s_waitcnt vmcnt(0)
	v_cvt_f64_i32_e32 v[18:19], v17
	v_cvt_f64_u32_e32 v[16:17], v16
	v_ldexp_f64 v[18:19], v[18:19], 32
	v_add_f64 v[16:17], v[18:19], v[16:17]
	s_branch .LBB9_1588
.LBB9_1585:
	s_mov_b64 s[0:1], -1
                                        ; implicit-def: $vgpr16_vgpr17
	s_branch .LBB9_1594
.LBB9_1586:
	s_mov_b64 s[0:1], -1
                                        ; implicit-def: $vgpr16_vgpr17
	s_branch .LBB9_1591
.LBB9_1587:
	s_mov_b64 s[0:1], -1
                                        ; implicit-def: $vgpr16_vgpr17
.LBB9_1588:
	s_andn2_b64 vcc, exec, s[0:1]
	s_cbranch_vccnz .LBB9_1590
; %bb.1589:
	global_load_dword v3, v[8:9], off
	s_waitcnt vmcnt(0)
	v_cvt_f64_i32_e32 v[16:17], v3
.LBB9_1590:
	s_mov_b64 s[0:1], 0
.LBB9_1591:
	s_andn2_b64 vcc, exec, s[0:1]
	s_cbranch_vccnz .LBB9_1593
; %bb.1592:
	global_load_sshort v3, v[8:9], off
	s_waitcnt vmcnt(0)
	v_cvt_f64_i32_e32 v[16:17], v3
.LBB9_1593:
	s_mov_b64 s[0:1], 0
.LBB9_1594:
	s_andn2_b64 vcc, exec, s[0:1]
	s_cbranch_vccnz .LBB9_1600
; %bb.1595:
	s_cmp_gt_i32 s8, 0
	s_cbranch_scc0 .LBB9_1597
; %bb.1596:
	global_load_sbyte v3, v[8:9], off
	s_mov_b64 s[0:1], 0
	s_waitcnt vmcnt(0)
	v_cvt_f64_i32_e32 v[16:17], v3
	s_branch .LBB9_1598
.LBB9_1597:
	s_mov_b64 s[0:1], -1
                                        ; implicit-def: $vgpr16_vgpr17
.LBB9_1598:
	s_andn2_b64 vcc, exec, s[0:1]
	s_cbranch_vccnz .LBB9_1600
; %bb.1599:
	global_load_ubyte v3, v[8:9], off
	s_waitcnt vmcnt(0)
	v_cvt_f64_u32_e32 v[16:17], v3
.LBB9_1600:
.LBB9_1601:
	s_mov_b32 s0, 0
	s_mov_b32 s1, 0x40200000
	s_waitcnt vmcnt(0)
	v_cmp_le_f64_e64 s[0:1], |v[16:17]|, s[0:1]
                                        ; implicit-def: $vgpr8_vgpr9
	s_and_saveexec_b64 s[8:9], s[0:1]
	s_xor_b64 s[0:1], exec, s[8:9]
	s_cbranch_execz .LBB9_1607
; %bb.1602:
	s_mov_b32 s8, 0xc3c4014
	v_fma_f64 v[8:9], |v[16:17]|, 0.5, -2.0
	v_mov_b32_e32 v18, 0xc38a0576
	v_mov_b32_e32 v19, 0xbc7857d0
	s_mov_b32 s9, 0x3c499f2a
	v_fmac_f64_e32 v[18:19], s[8:9], v[8:9]
	v_mov_b32_e32 v20, 0xc3c4014
	v_mov_b32_e32 v21, 0xbc499f2a
	s_mov_b32 s8, 0xe593bfac
	v_fmac_f64_e32 v[20:21], v[8:9], v[18:19]
	s_mov_b32 s9, 0x3ca663e3
	v_add_f64 v[20:21], v[20:21], s[8:9]
	s_mov_b32 s8, 0x7e0d1573
	v_fma_f64 v[18:19], v[8:9], v[20:21], -v[18:19]
	s_mov_b32 s9, 0xbcd3eaaa
	v_add_f64 v[18:19], v[18:19], s[8:9]
	s_mov_b32 s8, 0x615290c
	v_fma_f64 v[20:21], v[8:9], v[18:19], -v[20:21]
	;; [unrolled: 4-line block ×26, first 2 shown]
	s_mov_b32 s9, 0x3fd02a63
	v_add_f64 v[8:9], v[8:9], s[8:9]
	v_add_f64 v[8:9], v[8:9], -v[20:21]
	s_mov_b32 s8, 0x652b82fe
	v_mul_f64 v[8:9], v[8:9], 0.5
	s_mov_b32 s9, 0x3ff71547
	v_mul_f64 v[18:19], |v[16:17]|, v[8:9]
	v_mul_f64 v[8:9], |v[16:17]|, s[8:9]
	s_mov_b32 s8, 0xfefa39ef
	v_rndne_f64_e32 v[8:9], v[8:9]
	s_mov_b32 s9, 0xbfe62e42
	v_fma_f64 v[20:21], v[8:9], s[8:9], |v[16:17]|
	s_mov_b32 s8, 0x3b39803f
	s_mov_b32 s9, 0xbc7abc9e
	v_fmac_f64_e32 v[20:21], s[8:9], v[8:9]
	s_mov_b32 s8, 0x6a5dcb37
	v_mov_b32_e32 v22, 0xfca7ab0c
	v_mov_b32_e32 v23, 0x3e928af3
	s_mov_b32 s9, 0x3e5ade15
	v_fmac_f64_e32 v[22:23], s[8:9], v[20:21]
	v_mov_b32_e32 v24, 0x623fde64
	v_mov_b32_e32 v25, 0x3ec71dee
	v_fmac_f64_e32 v[24:25], v[20:21], v[22:23]
	v_mov_b32_e32 v22, 0x7c89e6b0
	v_mov_b32_e32 v23, 0x3efa0199
	;; [unrolled: 3-line block ×8, first 2 shown]
	v_fmac_f64_e32 v[22:23], v[20:21], v[24:25]
	v_fma_f64 v[22:23], v[20:21], v[22:23], 1.0
	v_cmp_ngt_f64_e32 vcc, 0, v[16:17]
	v_fma_f64 v[20:21], v[20:21], v[22:23], 1.0
	v_cvt_i32_f64_e32 v3, v[8:9]
                                        ; implicit-def: $vgpr8_vgpr9
	s_and_saveexec_b64 s[8:9], vcc
	s_xor_b64 s[8:9], exec, s[8:9]
; %bb.1603:
	s_mov_b32 s10, 0
	s_mov_b32 s11, 0x40900000
	v_ldexp_f64 v[8:9], v[20:21], v3
	v_mov_b32_e32 v3, 0x7ff00000
	v_cmp_ngt_f64_e64 vcc, |v[16:17]|, s[10:11]
                                        ; implicit-def: $vgpr20_vgpr21
                                        ; implicit-def: $vgpr16_vgpr17
	s_nop 1
	v_cndmask_b32_e32 v9, v3, v9, vcc
	v_cndmask_b32_e32 v8, 0, v8, vcc
	v_mul_f64 v[8:9], v[8:9], v[18:19]
                                        ; implicit-def: $vgpr3
                                        ; implicit-def: $vgpr18_vgpr19
; %bb.1604:
	s_andn2_saveexec_b64 s[8:9], s[8:9]
; %bb.1605:
	s_mov_b32 s10, 0
	s_mov_b32 s11, 0x40900000
	v_ldexp_f64 v[8:9], -v[20:21], v3
	v_mov_b32_e32 v3, 0xfff00000
	v_cmp_ngt_f64_e64 vcc, |v[16:17]|, s[10:11]
	s_nop 1
	v_cndmask_b32_e32 v9, v3, v9, vcc
	v_cndmask_b32_e32 v8, 0, v8, vcc
	v_mul_f64 v[8:9], v[8:9], v[18:19]
; %bb.1606:
	s_or_b64 exec, exec, s[8:9]
                                        ; implicit-def: $vgpr16_vgpr17
.LBB9_1607:
	s_andn2_saveexec_b64 s[8:9], s[0:1]
	s_cbranch_execz .LBB9_1613
; %bb.1608:
	s_mov_b32 s0, 0
	v_and_b32_e32 v9, 0x7fffffff, v17
	v_mov_b32_e32 v8, v16
	s_mov_b32 s1, 0x40400000
	v_div_scale_f64 v[18:19], s[10:11], v[8:9], v[8:9], s[0:1]
	v_rcp_f64_e32 v[20:21], v[18:19]
	v_div_scale_f64 v[8:9], vcc, s[0:1], v[8:9], s[0:1]
	v_mov_b32_e32 v24, 0xfca7ab0c
	v_fma_f64 v[22:23], -v[18:19], v[20:21], 1.0
	v_fmac_f64_e32 v[20:21], v[20:21], v[22:23]
	v_fma_f64 v[22:23], -v[18:19], v[20:21], 1.0
	v_fmac_f64_e32 v[20:21], v[20:21], v[22:23]
	v_mul_f64 v[22:23], v[8:9], v[20:21]
	v_fma_f64 v[8:9], -v[18:19], v[22:23], v[8:9]
	v_div_fmas_f64 v[8:9], v[8:9], v[20:21], v[22:23]
	v_div_fixup_f64 v[8:9], v[8:9], |v[16:17]|, s[0:1]
	s_mov_b32 s0, 0xb352e8e6
	v_add_f64 v[8:9], v[8:9], -2.0
	v_mov_b32_e32 v18, 0xea87b950
	v_mov_b32_e32 v19, 0x3c545b8a
	s_mov_b32 s1, 0x3c61556d
	v_fmac_f64_e32 v[18:19], s[0:1], v[8:9]
	v_mov_b32_e32 v20, 0xb352e8e6
	v_mov_b32_e32 v21, 0xbc61556d
	s_mov_b32 s0, 0xb2532277
	v_fmac_f64_e32 v[20:21], v[8:9], v[18:19]
	s_mov_b32 s1, 0xbc8acea3
	v_add_f64 v[20:21], v[20:21], s[0:1]
	s_mov_b32 s0, 0x9c773320
	v_fma_f64 v[18:19], v[8:9], v[20:21], -v[18:19]
	s_mov_b32 s1, 0xbc82806c
	v_add_f64 v[18:19], v[18:19], s[0:1]
	s_mov_b32 s0, 0xfceb588a
	v_fma_f64 v[20:21], v[8:9], v[18:19], -v[20:21]
	;; [unrolled: 4-line block ×22, first 2 shown]
	s_mov_b32 s1, 0x3fe8ea18
	v_add_f64 v[8:9], v[8:9], s[0:1]
	s_mov_b32 s0, 0x652b82fe
	s_mov_b32 s1, 0x3ff71547
	v_mul_f64 v[18:19], |v[16:17]|, s[0:1]
	s_mov_b32 s0, 0xfefa39ef
	v_rndne_f64_e32 v[18:19], v[18:19]
	s_mov_b32 s1, 0xbfe62e42
	v_fma_f64 v[22:23], v[18:19], s[0:1], |v[16:17]|
	s_mov_b32 s0, 0x3b39803f
	s_mov_b32 s1, 0xbc7abc9e
	v_fmac_f64_e32 v[22:23], s[0:1], v[18:19]
	s_mov_b32 s0, 0x6a5dcb37
	v_mov_b32_e32 v25, 0x3e928af3
	s_mov_b32 s1, 0x3e5ade15
	v_fmac_f64_e32 v[24:25], s[0:1], v[22:23]
	v_mov_b32_e32 v26, 0x623fde64
	v_mov_b32_e32 v27, 0x3ec71dee
	v_fmac_f64_e32 v[26:27], v[22:23], v[24:25]
	v_mov_b32_e32 v24, 0x7c89e6b0
	v_mov_b32_e32 v25, 0x3efa0199
	;; [unrolled: 3-line block ×8, first 2 shown]
	v_fmac_f64_e32 v[24:25], v[22:23], v[26:27]
	v_fma_f64 v[24:25], v[22:23], v[24:25], 1.0
	s_mov_b32 s0, 0
	v_fma_f64 v[22:23], v[22:23], v[24:25], 1.0
	v_cvt_i32_f64_e32 v3, v[18:19]
	s_mov_b32 s1, 0x40900000
	v_ldexp_f64 v[18:19], v[22:23], v3
	v_mov_b32_e32 v3, 0x7ff00000
	v_cmp_ngt_f64_e64 s[0:1], |v[16:17]|, s[0:1]
	v_cmp_ngt_f64_e32 vcc, 0, v[16:17]
	v_add_f64 v[20:21], v[8:9], -v[20:21]
	v_cndmask_b32_e64 v19, v3, v19, s[0:1]
	v_cndmask_b32_e64 v18, 0, v18, s[0:1]
                                        ; implicit-def: $vgpr8_vgpr9
	s_and_saveexec_b64 s[0:1], vcc
	s_xor_b64 s[0:1], exec, s[0:1]
	s_cbranch_execz .LBB9_1610
; %bb.1609:
	s_mov_b32 s10, 0
	s_brev_b32 s11, 8
	v_mov_b32_e32 v3, 0x100
	v_cmp_lt_f64_e64 vcc, |v[16:17]|, s[10:11]
	v_mul_f64 v[20:21], v[20:21], 0.5
	v_mul_f64 v[18:19], v[18:19], v[20:21]
	v_cndmask_b32_e32 v3, 0, v3, vcc
	v_ldexp_f64 v[8:9], |v[16:17]|, v3
	v_rsq_f64_e32 v[16:17], v[8:9]
	v_mov_b32_e32 v3, 0xffffff80
	v_cndmask_b32_e32 v3, 0, v3, vcc
	v_mul_f64 v[20:21], v[8:9], v[16:17]
	v_mul_f64 v[16:17], v[16:17], 0.5
	v_fma_f64 v[22:23], -v[16:17], v[20:21], 0.5
	v_fmac_f64_e32 v[20:21], v[20:21], v[22:23]
	v_fma_f64 v[24:25], -v[20:21], v[20:21], v[8:9]
	v_fmac_f64_e32 v[16:17], v[16:17], v[22:23]
	v_fmac_f64_e32 v[20:21], v[24:25], v[16:17]
	v_fma_f64 v[22:23], -v[20:21], v[20:21], v[8:9]
	v_fmac_f64_e32 v[20:21], v[22:23], v[16:17]
	v_ldexp_f64 v[16:17], v[20:21], v3
	v_mov_b32_e32 v3, 0x260
	v_cmp_class_f64_e32 vcc, v[8:9], v3
	s_nop 1
	v_cndmask_b32_e32 v9, v17, v9, vcc
	v_cndmask_b32_e32 v8, v16, v8, vcc
	v_div_scale_f64 v[16:17], s[10:11], v[8:9], v[8:9], v[18:19]
	v_rcp_f64_e32 v[20:21], v[16:17]
	s_nop 0
	v_fma_f64 v[22:23], -v[16:17], v[20:21], 1.0
	v_fmac_f64_e32 v[20:21], v[20:21], v[22:23]
	v_fma_f64 v[22:23], -v[16:17], v[20:21], 1.0
	v_fmac_f64_e32 v[20:21], v[20:21], v[22:23]
	v_div_scale_f64 v[22:23], vcc, v[18:19], v[8:9], v[18:19]
	v_mul_f64 v[24:25], v[22:23], v[20:21]
	v_fma_f64 v[16:17], -v[16:17], v[24:25], v[22:23]
	s_nop 1
	v_div_fmas_f64 v[16:17], v[16:17], v[20:21], v[24:25]
	v_div_fixup_f64 v[8:9], v[16:17], v[8:9], v[18:19]
                                        ; implicit-def: $vgpr16_vgpr17
                                        ; implicit-def: $vgpr20_vgpr21
                                        ; implicit-def: $vgpr18_vgpr19
.LBB9_1610:
	s_andn2_saveexec_b64 s[0:1], s[0:1]
	s_cbranch_execz .LBB9_1612
; %bb.1611:
	s_mov_b32 s10, 0
	s_brev_b32 s11, 8
	v_mov_b32_e32 v3, 0x100
	v_cmp_lt_f64_e64 vcc, |v[16:17]|, s[10:11]
	s_nop 1
	v_cndmask_b32_e32 v3, 0, v3, vcc
	v_ldexp_f64 v[8:9], |v[16:17]|, v3
	v_rsq_f64_e32 v[16:17], v[8:9]
	v_mov_b32_e32 v3, 0xffffff80
	v_cndmask_b32_e32 v3, 0, v3, vcc
	v_mul_f64 v[22:23], v[8:9], v[16:17]
	v_mul_f64 v[16:17], v[16:17], 0.5
	v_fma_f64 v[24:25], -v[16:17], v[22:23], 0.5
	v_fmac_f64_e32 v[22:23], v[22:23], v[24:25]
	v_fma_f64 v[26:27], -v[22:23], v[22:23], v[8:9]
	v_fmac_f64_e32 v[16:17], v[16:17], v[24:25]
	v_fmac_f64_e32 v[22:23], v[26:27], v[16:17]
	v_fma_f64 v[24:25], -v[22:23], v[22:23], v[8:9]
	v_fmac_f64_e32 v[22:23], v[24:25], v[16:17]
	v_ldexp_f64 v[16:17], v[22:23], v3
	v_mov_b32_e32 v3, 0x260
	v_cmp_class_f64_e32 vcc, v[8:9], v3
	s_nop 1
	v_cndmask_b32_e32 v9, v17, v9, vcc
	v_cndmask_b32_e32 v8, v16, v8, vcc
	v_mul_f64 v[16:17], v[20:21], -0.5
	v_mul_f64 v[16:17], v[18:19], v[16:17]
	v_div_scale_f64 v[18:19], s[10:11], v[8:9], v[8:9], v[16:17]
	v_rcp_f64_e32 v[20:21], v[18:19]
	s_nop 0
	v_fma_f64 v[22:23], -v[18:19], v[20:21], 1.0
	v_fmac_f64_e32 v[20:21], v[20:21], v[22:23]
	v_fma_f64 v[22:23], -v[18:19], v[20:21], 1.0
	v_fmac_f64_e32 v[20:21], v[20:21], v[22:23]
	v_div_scale_f64 v[22:23], vcc, v[16:17], v[8:9], v[16:17]
	v_mul_f64 v[24:25], v[22:23], v[20:21]
	v_fma_f64 v[18:19], -v[18:19], v[24:25], v[22:23]
	s_nop 1
	v_div_fmas_f64 v[18:19], v[18:19], v[20:21], v[24:25]
	v_div_fixup_f64 v[8:9], v[18:19], v[8:9], v[16:17]
.LBB9_1612:
	s_or_b64 exec, exec, s[0:1]
.LBB9_1613:
	s_or_b64 exec, exec, s[8:9]
	v_mov_b32_e32 v13, 0
	s_cmp_lt_i32 s17, 11
	v_lshl_add_u64 v[12:13], s[6:7], 0, v[12:13]
	s_cbranch_scc1 .LBB9_1620
; %bb.1614:
	s_and_b32 s14, 0xffff, s17
	s_cmp_gt_i32 s14, 25
	s_mov_b64 s[6:7], 0
	s_cbranch_scc0 .LBB9_1621
; %bb.1615:
	s_cmp_gt_i32 s14, 28
	s_cbranch_scc0 .LBB9_1622
; %bb.1616:
	s_cmp_gt_i32 s14, 43
	;; [unrolled: 3-line block ×3, first 2 shown]
	s_cbranch_scc0 .LBB9_1625
; %bb.1618:
	s_cmp_eq_u32 s14, 46
	s_mov_b64 s[10:11], 0
	s_cbranch_scc0 .LBB9_1626
; %bb.1619:
	global_load_dword v3, v[12:13], off
	s_mov_b64 s[0:1], 0
	s_mov_b64 s[8:9], -1
	s_waitcnt vmcnt(0)
	v_lshlrev_b32_e32 v3, 16, v3
	v_cvt_f64_f32_e32 v[16:17], v3
	s_branch .LBB9_1627
.LBB9_1620:
	s_mov_b64 s[0:1], -1
	s_mov_b64 s[8:9], 0
                                        ; implicit-def: $vgpr16_vgpr17
	s_branch .LBB9_1693
.LBB9_1621:
	s_mov_b64 s[10:11], -1
	s_mov_b64 s[8:9], 0
	s_mov_b64 s[0:1], 0
                                        ; implicit-def: $vgpr16_vgpr17
	s_branch .LBB9_1658
.LBB9_1622:
	s_mov_b64 s[10:11], -1
	s_mov_b64 s[8:9], 0
	s_mov_b64 s[0:1], 0
                                        ; implicit-def: $vgpr16_vgpr17
	s_branch .LBB9_1637
.LBB9_1623:
	s_mov_b64 s[10:11], -1
	s_mov_b64 s[8:9], 0
	s_mov_b64 s[0:1], 0
                                        ; implicit-def: $vgpr16_vgpr17
	s_branch .LBB9_1632
.LBB9_1624:
	s_trap 2
	s_or_b64 s[2:3], s[2:3], exec
	s_cbranch_execz .LBB9_1551
	s_branch .LBB9_1552
.LBB9_1625:
	s_mov_b64 s[10:11], -1
	s_mov_b64 s[8:9], 0
	s_mov_b64 s[0:1], 0
                                        ; implicit-def: $vgpr16_vgpr17
	s_branch .LBB9_1627
.LBB9_1626:
	s_mov_b64 s[0:1], -1
                                        ; implicit-def: $vgpr16_vgpr17
	s_mov_b64 s[8:9], 0
.LBB9_1627:
	s_and_b64 vcc, exec, s[10:11]
	s_cbranch_vccz .LBB9_1631
; %bb.1628:
	s_cmp_eq_u32 s14, 44
	s_cbranch_scc0 .LBB9_1630
; %bb.1629:
	global_load_ubyte v3, v[12:13], off
	s_movk_i32 s8, 0xff
	v_bfrev_b32_e32 v7, 4
	v_mov_b32_e32 v11, 0x7ff80000
	v_bfrev_b32_e32 v15, 28
	s_mov_b64 s[0:1], 0
	s_waitcnt vmcnt(0)
	v_lshlrev_b32_e32 v16, 23, v3
	v_cvt_f64_f32_e32 v[16:17], v16
	v_cmp_ne_u32_e32 vcc, s8, v3
	s_mov_b64 s[8:9], -1
	s_nop 0
	v_cndmask_b32_e32 v7, v7, v16, vcc
	v_cndmask_b32_e32 v11, v11, v17, vcc
	v_cmp_ne_u32_e32 vcc, 0, v3
	s_nop 1
	v_cndmask_b32_e32 v17, v15, v11, vcc
	v_cndmask_b32_e32 v16, 0, v7, vcc
	s_branch .LBB9_1631
.LBB9_1630:
	s_mov_b64 s[0:1], -1
                                        ; implicit-def: $vgpr16_vgpr17
.LBB9_1631:
	s_mov_b64 s[10:11], 0
.LBB9_1632:
	s_and_b64 vcc, exec, s[10:11]
	s_cbranch_vccz .LBB9_1636
; %bb.1633:
	s_cmp_eq_u32 s14, 29
	s_cbranch_scc0 .LBB9_1635
; %bb.1634:
	global_load_dwordx2 v[16:17], v[12:13], off
	s_mov_b64 s[0:1], 0
	s_mov_b64 s[8:9], -1
	s_mov_b64 s[10:11], 0
	s_waitcnt vmcnt(0)
	v_cvt_f64_u32_e32 v[18:19], v17
	v_cvt_f64_u32_e32 v[16:17], v16
	v_ldexp_f64 v[18:19], v[18:19], 32
	v_add_f64 v[16:17], v[18:19], v[16:17]
	s_branch .LBB9_1637
.LBB9_1635:
	s_mov_b64 s[0:1], -1
                                        ; implicit-def: $vgpr16_vgpr17
.LBB9_1636:
	s_mov_b64 s[10:11], 0
.LBB9_1637:
	s_and_b64 vcc, exec, s[10:11]
	s_cbranch_vccz .LBB9_1657
; %bb.1638:
	s_cmp_lt_i32 s14, 27
	s_cbranch_scc1 .LBB9_1641
; %bb.1639:
	s_cmp_gt_i32 s14, 27
	s_cbranch_scc0 .LBB9_1642
; %bb.1640:
	global_load_dword v3, v[12:13], off
	s_mov_b64 s[8:9], 0
	s_waitcnt vmcnt(0)
	v_cvt_f64_u32_e32 v[16:17], v3
	s_branch .LBB9_1643
.LBB9_1641:
	s_mov_b64 s[8:9], -1
                                        ; implicit-def: $vgpr16_vgpr17
	s_branch .LBB9_1646
.LBB9_1642:
	s_mov_b64 s[8:9], -1
                                        ; implicit-def: $vgpr16_vgpr17
.LBB9_1643:
	s_andn2_b64 vcc, exec, s[8:9]
	s_cbranch_vccnz .LBB9_1645
; %bb.1644:
	global_load_ushort v3, v[12:13], off
	s_waitcnt vmcnt(0)
	v_cvt_f64_u32_e32 v[16:17], v3
.LBB9_1645:
	s_mov_b64 s[8:9], 0
.LBB9_1646:
	s_andn2_b64 vcc, exec, s[8:9]
	s_cbranch_vccnz .LBB9_1656
; %bb.1647:
	global_load_ubyte v3, v[12:13], off
	s_movk_i32 s8, 0x7f
	s_waitcnt vmcnt(0)
	v_cmp_lt_i16_e32 vcc, s8, v3
	s_mov_b64 s[8:9], 0
	s_and_saveexec_b64 s[10:11], vcc
	s_xor_b64 s[10:11], exec, s[10:11]
	s_cbranch_execz .LBB9_1651
; %bb.1648:
	s_movk_i32 s8, 0x80
	v_cmp_eq_u16_e32 vcc, s8, v3
	s_mov_b64 s[8:9], -1
	s_and_saveexec_b64 s[12:13], vcc
; %bb.1649:
	s_xor_b64 s[8:9], exec, -1
; %bb.1650:
	s_or_b64 exec, exec, s[12:13]
	s_and_b64 s[8:9], s[8:9], exec
.LBB9_1651:
	s_or_saveexec_b64 s[10:11], s[10:11]
	v_bfrev_b32_e32 v16, 4
	v_mov_b32_e32 v17, 0x7ff80000
	s_xor_b64 exec, exec, s[10:11]
; %bb.1652:
	v_cmp_ne_u16_e32 vcc, 0, v3
	s_andn2_b64 s[8:9], s[8:9], exec
	s_and_b64 s[12:13], vcc, exec
	v_mov_b64_e32 v[16:17], 0
	s_or_b64 s[8:9], s[8:9], s[12:13]
; %bb.1653:
	s_or_b64 exec, exec, s[10:11]
	s_and_saveexec_b64 s[10:11], s[8:9]
	s_cbranch_execz .LBB9_1655
; %bb.1654:
	v_lshlrev_b32_e32 v7, 24, v3
	v_and_b32_e32 v3, 0xffff, v3
	v_and_b32_e32 v11, 7, v3
	v_ffbh_u32_e32 v16, v11
	v_min_u32_e32 v16, 32, v16
	v_subrev_u32_e32 v17, 28, v16
	v_bfe_u32 v15, v3, 3, 4
	v_lshlrev_b32_e32 v3, v17, v3
	v_sub_u32_e32 v16, 29, v16
	v_and_b32_e32 v3, 7, v3
	v_cmp_eq_u32_e32 vcc, 0, v15
	v_and_b32_e32 v7, 0x80000000, v7
	s_nop 0
	v_cndmask_b32_e32 v15, v15, v16, vcc
	v_cndmask_b32_e32 v3, v11, v3, vcc
	v_mov_b32_e32 v11, 0x3b800000
	v_lshlrev_b32_e32 v3, 20, v3
	v_lshl_add_u32 v11, v15, 23, v11
	v_or3_b32 v3, v7, v11, v3
	v_cvt_f64_f32_e32 v[16:17], v3
.LBB9_1655:
	s_or_b64 exec, exec, s[10:11]
.LBB9_1656:
	s_mov_b64 s[8:9], -1
.LBB9_1657:
	s_mov_b64 s[10:11], 0
.LBB9_1658:
	s_and_b64 vcc, exec, s[10:11]
	s_cbranch_vccz .LBB9_1689
; %bb.1659:
	s_cmp_gt_i32 s14, 22
	s_cbranch_scc0 .LBB9_1671
; %bb.1660:
	s_cmp_lt_i32 s14, 24
	s_cbranch_scc1 .LBB9_1672
; %bb.1661:
	s_cmp_gt_i32 s14, 24
	s_cbranch_scc0 .LBB9_1673
; %bb.1662:
	global_load_ubyte v3, v[12:13], off
	s_movk_i32 s6, 0x7f
	s_waitcnt vmcnt(0)
	v_cmp_lt_i16_e32 vcc, s6, v3
	s_mov_b64 s[6:7], 0
	s_and_saveexec_b64 s[8:9], vcc
	s_xor_b64 s[8:9], exec, s[8:9]
	s_cbranch_execz .LBB9_1666
; %bb.1663:
	s_movk_i32 s6, 0x80
	v_cmp_eq_u16_e32 vcc, s6, v3
	s_mov_b64 s[6:7], -1
	s_and_saveexec_b64 s[10:11], vcc
; %bb.1664:
	s_xor_b64 s[6:7], exec, -1
; %bb.1665:
	s_or_b64 exec, exec, s[10:11]
	s_and_b64 s[6:7], s[6:7], exec
.LBB9_1666:
	s_or_saveexec_b64 s[8:9], s[8:9]
	v_bfrev_b32_e32 v16, 4
	v_mov_b32_e32 v17, 0x7ff80000
	s_xor_b64 exec, exec, s[8:9]
; %bb.1667:
	v_cmp_ne_u16_e32 vcc, 0, v3
	s_andn2_b64 s[6:7], s[6:7], exec
	s_and_b64 s[10:11], vcc, exec
	v_mov_b64_e32 v[16:17], 0
	s_or_b64 s[6:7], s[6:7], s[10:11]
; %bb.1668:
	s_or_b64 exec, exec, s[8:9]
	s_and_saveexec_b64 s[8:9], s[6:7]
	s_cbranch_execz .LBB9_1670
; %bb.1669:
	v_lshlrev_b32_e32 v7, 24, v3
	v_and_b32_e32 v3, 0xffff, v3
	v_and_b32_e32 v11, 3, v3
	v_ffbh_u32_e32 v16, v11
	v_min_u32_e32 v16, 32, v16
	v_subrev_u32_e32 v17, 29, v16
	v_bfe_u32 v15, v3, 2, 5
	v_lshlrev_b32_e32 v3, v17, v3
	v_sub_u32_e32 v16, 30, v16
	v_and_b32_e32 v3, 3, v3
	v_cmp_eq_u32_e32 vcc, 0, v15
	v_and_b32_e32 v7, 0x80000000, v7
	s_nop 0
	v_cndmask_b32_e32 v15, v15, v16, vcc
	v_cndmask_b32_e32 v3, v11, v3, vcc
	v_mov_b32_e32 v11, 0x37800000
	v_lshlrev_b32_e32 v3, 21, v3
	v_lshl_add_u32 v11, v15, 23, v11
	v_or3_b32 v3, v7, v11, v3
	v_cvt_f64_f32_e32 v[16:17], v3
.LBB9_1670:
	s_or_b64 exec, exec, s[8:9]
	s_mov_b64 s[6:7], 0
	s_branch .LBB9_1674
.LBB9_1671:
	s_mov_b64 s[6:7], -1
                                        ; implicit-def: $vgpr16_vgpr17
	s_branch .LBB9_1680
.LBB9_1672:
	s_mov_b64 s[6:7], -1
                                        ; implicit-def: $vgpr16_vgpr17
	s_branch .LBB9_1677
.LBB9_1673:
	s_mov_b64 s[6:7], -1
                                        ; implicit-def: $vgpr16_vgpr17
.LBB9_1674:
	s_and_b64 vcc, exec, s[6:7]
	s_cbranch_vccz .LBB9_1676
; %bb.1675:
	global_load_ubyte v3, v[12:13], off
	s_mov_b32 s6, 0x7f800000
	s_waitcnt vmcnt(0)
	v_lshlrev_b32_e32 v3, 24, v3
	v_and_b32_e32 v7, 0x7f000000, v3
	v_ffbh_u32_e32 v11, v7
	v_min_u32_e32 v11, 32, v11
	v_sub_u32_e64 v11, v11, 4 clamp
	v_lshlrev_b32_e32 v16, v11, v7
	v_lshlrev_b32_e32 v11, 23, v11
	v_lshrrev_b32_e32 v16, 4, v16
	v_add_u32_e32 v15, 0x1000000, v7
	v_sub_u32_e32 v11, v16, v11
	v_ashrrev_i32_e32 v15, 8, v15
	v_add_u32_e32 v11, 0x3c000000, v11
	v_and_or_b32 v11, v15, s6, v11
	v_cmp_ne_u32_e32 vcc, 0, v7
	s_brev_b32 s6, 1
	s_nop 0
	v_cndmask_b32_e32 v7, 0, v11, vcc
	v_and_or_b32 v3, v3, s6, v7
	v_cvt_f64_f32_e32 v[16:17], v3
.LBB9_1676:
	s_mov_b64 s[6:7], 0
.LBB9_1677:
	s_andn2_b64 vcc, exec, s[6:7]
	s_cbranch_vccnz .LBB9_1679
; %bb.1678:
	global_load_ubyte v3, v[12:13], off
	s_movk_i32 s6, 0x7f00
	s_brev_b32 s7, 16
	s_waitcnt vmcnt(0)
	v_lshlrev_b16_e32 v7, 8, v3
	v_lshlrev_b32_e32 v3, 25, v3
	v_lshrrev_b32_e32 v11, 4, v3
	v_and_or_b32 v15, v7, s6, 0.5
	v_or_b32_e32 v11, 0x70000000, v11
	v_add_f32_e32 v15, -0.5, v15
	v_mul_f32_e32 v11, 0x7800000, v11
	v_cmp_gt_u32_e32 vcc, s7, v3
	v_bfe_i32 v7, v7, 0, 16
	s_brev_b32 s6, 1
	v_cndmask_b32_e32 v3, v11, v15, vcc
	v_and_or_b32 v3, v7, s6, v3
	v_cvt_f64_f32_e32 v[16:17], v3
.LBB9_1679:
	s_mov_b64 s[6:7], 0
	s_mov_b64 s[8:9], -1
.LBB9_1680:
	s_andn2_b64 vcc, exec, s[6:7]
	s_mov_b64 s[6:7], 0
	s_cbranch_vccnz .LBB9_1689
; %bb.1681:
	s_cmp_gt_i32 s14, 14
	s_cbranch_scc0 .LBB9_1684
; %bb.1682:
	s_cmp_eq_u32 s14, 15
	s_cbranch_scc0 .LBB9_1685
; %bb.1683:
	global_load_ushort v3, v[12:13], off
	s_mov_b64 s[0:1], 0
	s_mov_b64 s[8:9], -1
	s_waitcnt vmcnt(0)
	v_lshlrev_b32_e32 v3, 16, v3
	v_cvt_f64_f32_e32 v[16:17], v3
	s_branch .LBB9_1686
.LBB9_1684:
	s_mov_b64 s[10:11], -1
                                        ; implicit-def: $vgpr16_vgpr17
	s_branch .LBB9_1687
.LBB9_1685:
	s_mov_b64 s[0:1], -1
                                        ; implicit-def: $vgpr16_vgpr17
.LBB9_1686:
	s_mov_b64 s[10:11], 0
.LBB9_1687:
	s_and_b64 vcc, exec, s[10:11]
	s_cbranch_vccz .LBB9_1689
; %bb.1688:
	s_cmp_lg_u32 s14, 11
	s_mov_b64 s[6:7], -1
	s_cselect_b64 s[0:1], -1, 0
.LBB9_1689:
	s_and_b64 vcc, exec, s[0:1]
	s_cbranch_vccnz .LBB9_2236
; %bb.1690:
	s_andn2_b64 vcc, exec, s[6:7]
	s_cbranch_vccnz .LBB9_1692
.LBB9_1691:
	global_load_ubyte v3, v[12:13], off
	v_mov_b32_e32 v7, 0x3ff00000
	v_mov_b32_e32 v16, 0
	s_mov_b64 s[8:9], -1
	s_waitcnt vmcnt(0)
	v_cmp_ne_u16_e32 vcc, 0, v3
	s_nop 1
	v_cndmask_b32_e32 v17, 0, v7, vcc
.LBB9_1692:
	s_mov_b64 s[0:1], 0
.LBB9_1693:
	s_and_b64 vcc, exec, s[0:1]
	s_cbranch_vccz .LBB9_1742
; %bb.1694:
	s_and_b32 s6, 0xffff, s17
	s_cmp_lt_i32 s6, 5
	s_cbranch_scc1 .LBB9_1699
; %bb.1695:
	s_cmp_lt_i32 s6, 8
	s_cbranch_scc1 .LBB9_1700
; %bb.1696:
	;; [unrolled: 3-line block ×3, first 2 shown]
	s_cmp_gt_i32 s6, 9
	s_cbranch_scc0 .LBB9_1702
; %bb.1698:
	global_load_dwordx2 v[16:17], v[12:13], off
	s_mov_b64 s[0:1], 0
	s_branch .LBB9_1703
.LBB9_1699:
	s_mov_b64 s[0:1], -1
                                        ; implicit-def: $vgpr16_vgpr17
	s_branch .LBB9_1721
.LBB9_1700:
	s_mov_b64 s[0:1], -1
                                        ; implicit-def: $vgpr16_vgpr17
	s_branch .LBB9_1709
.LBB9_1701:
	s_mov_b64 s[0:1], -1
                                        ; implicit-def: $vgpr16_vgpr17
	s_branch .LBB9_1706
.LBB9_1702:
	s_mov_b64 s[0:1], -1
                                        ; implicit-def: $vgpr16_vgpr17
.LBB9_1703:
	s_andn2_b64 vcc, exec, s[0:1]
	s_cbranch_vccnz .LBB9_1705
; %bb.1704:
	global_load_dword v3, v[12:13], off
	s_waitcnt vmcnt(0)
	v_cvt_f64_f32_e32 v[16:17], v3
.LBB9_1705:
	s_mov_b64 s[0:1], 0
.LBB9_1706:
	s_andn2_b64 vcc, exec, s[0:1]
	s_cbranch_vccnz .LBB9_1708
; %bb.1707:
	global_load_dword v3, v[12:13], off
	s_waitcnt vmcnt(0)
	v_cvt_f32_f16_e32 v3, v3
	v_cvt_f64_f32_e32 v[16:17], v3
.LBB9_1708:
	s_mov_b64 s[0:1], 0
.LBB9_1709:
	s_andn2_b64 vcc, exec, s[0:1]
	s_cbranch_vccnz .LBB9_1720
; %bb.1710:
	s_cmp_lt_i32 s6, 6
	s_cbranch_scc1 .LBB9_1713
; %bb.1711:
	s_cmp_gt_i32 s6, 6
	s_cbranch_scc0 .LBB9_1714
; %bb.1712:
	global_load_dwordx2 v[16:17], v[12:13], off
	s_mov_b64 s[0:1], 0
	s_branch .LBB9_1715
.LBB9_1713:
	s_mov_b64 s[0:1], -1
                                        ; implicit-def: $vgpr16_vgpr17
	s_branch .LBB9_1718
.LBB9_1714:
	s_mov_b64 s[0:1], -1
                                        ; implicit-def: $vgpr16_vgpr17
.LBB9_1715:
	s_andn2_b64 vcc, exec, s[0:1]
	s_cbranch_vccnz .LBB9_1717
; %bb.1716:
	global_load_dword v3, v[12:13], off
	s_waitcnt vmcnt(0)
	v_cvt_f64_f32_e32 v[16:17], v3
.LBB9_1717:
	s_mov_b64 s[0:1], 0
.LBB9_1718:
	s_andn2_b64 vcc, exec, s[0:1]
	s_cbranch_vccnz .LBB9_1720
; %bb.1719:
	global_load_ushort v3, v[12:13], off
	s_waitcnt vmcnt(0)
	v_cvt_f32_f16_e32 v3, v3
	v_cvt_f64_f32_e32 v[16:17], v3
.LBB9_1720:
	s_mov_b64 s[0:1], 0
.LBB9_1721:
	s_andn2_b64 vcc, exec, s[0:1]
	s_cbranch_vccnz .LBB9_1741
; %bb.1722:
	s_cmp_lt_i32 s6, 2
	s_cbranch_scc1 .LBB9_1726
; %bb.1723:
	s_cmp_lt_i32 s6, 3
	s_cbranch_scc1 .LBB9_1727
; %bb.1724:
	s_cmp_gt_i32 s6, 3
	s_cbranch_scc0 .LBB9_1728
; %bb.1725:
	global_load_dwordx2 v[16:17], v[12:13], off
	s_mov_b64 s[0:1], 0
	s_waitcnt vmcnt(0)
	v_cvt_f64_i32_e32 v[18:19], v17
	v_cvt_f64_u32_e32 v[16:17], v16
	v_ldexp_f64 v[18:19], v[18:19], 32
	v_add_f64 v[16:17], v[18:19], v[16:17]
	s_branch .LBB9_1729
.LBB9_1726:
	s_mov_b64 s[0:1], -1
                                        ; implicit-def: $vgpr16_vgpr17
	s_branch .LBB9_1735
.LBB9_1727:
	s_mov_b64 s[0:1], -1
                                        ; implicit-def: $vgpr16_vgpr17
	s_branch .LBB9_1732
.LBB9_1728:
	s_mov_b64 s[0:1], -1
                                        ; implicit-def: $vgpr16_vgpr17
.LBB9_1729:
	s_andn2_b64 vcc, exec, s[0:1]
	s_cbranch_vccnz .LBB9_1731
; %bb.1730:
	global_load_dword v3, v[12:13], off
	s_waitcnt vmcnt(0)
	v_cvt_f64_i32_e32 v[16:17], v3
.LBB9_1731:
	s_mov_b64 s[0:1], 0
.LBB9_1732:
	s_andn2_b64 vcc, exec, s[0:1]
	s_cbranch_vccnz .LBB9_1734
; %bb.1733:
	global_load_sshort v3, v[12:13], off
	s_waitcnt vmcnt(0)
	v_cvt_f64_i32_e32 v[16:17], v3
.LBB9_1734:
	s_mov_b64 s[0:1], 0
.LBB9_1735:
	s_andn2_b64 vcc, exec, s[0:1]
	s_cbranch_vccnz .LBB9_1741
; %bb.1736:
	s_cmp_gt_i32 s6, 0
	s_cbranch_scc0 .LBB9_1738
; %bb.1737:
	global_load_sbyte v3, v[12:13], off
	s_mov_b64 s[0:1], 0
	s_waitcnt vmcnt(0)
	v_cvt_f64_i32_e32 v[16:17], v3
	s_branch .LBB9_1739
.LBB9_1738:
	s_mov_b64 s[0:1], -1
                                        ; implicit-def: $vgpr16_vgpr17
.LBB9_1739:
	s_andn2_b64 vcc, exec, s[0:1]
	s_cbranch_vccnz .LBB9_1741
; %bb.1740:
	global_load_ubyte v3, v[12:13], off
	s_waitcnt vmcnt(0)
	v_cvt_f64_u32_e32 v[16:17], v3
.LBB9_1741:
	s_mov_b64 s[8:9], -1
.LBB9_1742:
	s_andn2_b64 vcc, exec, s[8:9]
	s_cbranch_vccnz .LBB9_1833
; %bb.1743:
	s_mov_b32 s0, 0
	s_mov_b32 s1, 0x40200000
	s_waitcnt vmcnt(0)
	v_cmp_le_f64_e64 s[0:1], |v[16:17]|, s[0:1]
                                        ; implicit-def: $vgpr12_vgpr13
	s_and_saveexec_b64 s[6:7], s[0:1]
	s_xor_b64 s[0:1], exec, s[6:7]
	s_cbranch_execz .LBB9_1749
; %bb.1744:
	s_mov_b32 s6, 0xc3c4014
	v_fma_f64 v[12:13], |v[16:17]|, 0.5, -2.0
	v_mov_b32_e32 v18, 0xc38a0576
	v_mov_b32_e32 v19, 0xbc7857d0
	s_mov_b32 s7, 0x3c499f2a
	v_fmac_f64_e32 v[18:19], s[6:7], v[12:13]
	v_mov_b32_e32 v20, 0xc3c4014
	v_mov_b32_e32 v21, 0xbc499f2a
	s_mov_b32 s6, 0xe593bfac
	v_fmac_f64_e32 v[20:21], v[12:13], v[18:19]
	s_mov_b32 s7, 0x3ca663e3
	v_add_f64 v[20:21], v[20:21], s[6:7]
	s_mov_b32 s6, 0x7e0d1573
	v_fma_f64 v[18:19], v[12:13], v[20:21], -v[18:19]
	s_mov_b32 s7, 0xbcd3eaaa
	v_add_f64 v[18:19], v[18:19], s[6:7]
	s_mov_b32 s6, 0x615290c
	v_fma_f64 v[20:21], v[12:13], v[18:19], -v[20:21]
	;; [unrolled: 4-line block ×26, first 2 shown]
	s_mov_b32 s7, 0x3fd02a63
	v_add_f64 v[12:13], v[12:13], s[6:7]
	v_add_f64 v[12:13], v[12:13], -v[20:21]
	s_mov_b32 s6, 0x652b82fe
	v_mul_f64 v[12:13], v[12:13], 0.5
	s_mov_b32 s7, 0x3ff71547
	v_mul_f64 v[18:19], |v[16:17]|, v[12:13]
	v_mul_f64 v[12:13], |v[16:17]|, s[6:7]
	s_mov_b32 s6, 0xfefa39ef
	v_rndne_f64_e32 v[12:13], v[12:13]
	s_mov_b32 s7, 0xbfe62e42
	v_fma_f64 v[20:21], v[12:13], s[6:7], |v[16:17]|
	s_mov_b32 s6, 0x3b39803f
	s_mov_b32 s7, 0xbc7abc9e
	v_fmac_f64_e32 v[20:21], s[6:7], v[12:13]
	s_mov_b32 s6, 0x6a5dcb37
	v_mov_b32_e32 v22, 0xfca7ab0c
	v_mov_b32_e32 v23, 0x3e928af3
	s_mov_b32 s7, 0x3e5ade15
	v_fmac_f64_e32 v[22:23], s[6:7], v[20:21]
	v_mov_b32_e32 v24, 0x623fde64
	v_mov_b32_e32 v25, 0x3ec71dee
	v_fmac_f64_e32 v[24:25], v[20:21], v[22:23]
	v_mov_b32_e32 v22, 0x7c89e6b0
	v_mov_b32_e32 v23, 0x3efa0199
	;; [unrolled: 3-line block ×8, first 2 shown]
	v_fmac_f64_e32 v[22:23], v[20:21], v[24:25]
	v_fma_f64 v[22:23], v[20:21], v[22:23], 1.0
	v_cmp_ngt_f64_e32 vcc, 0, v[16:17]
	v_fma_f64 v[20:21], v[20:21], v[22:23], 1.0
	v_cvt_i32_f64_e32 v3, v[12:13]
                                        ; implicit-def: $vgpr12_vgpr13
	s_and_saveexec_b64 s[6:7], vcc
	s_xor_b64 s[6:7], exec, s[6:7]
; %bb.1745:
	s_mov_b32 s8, 0
	s_mov_b32 s9, 0x40900000
	v_ldexp_f64 v[12:13], v[20:21], v3
	v_mov_b32_e32 v3, 0x7ff00000
	v_cmp_ngt_f64_e64 vcc, |v[16:17]|, s[8:9]
                                        ; implicit-def: $vgpr20_vgpr21
                                        ; implicit-def: $vgpr16_vgpr17
	s_nop 1
	v_cndmask_b32_e32 v13, v3, v13, vcc
	v_cndmask_b32_e32 v12, 0, v12, vcc
	v_mul_f64 v[12:13], v[12:13], v[18:19]
                                        ; implicit-def: $vgpr3
                                        ; implicit-def: $vgpr18_vgpr19
; %bb.1746:
	s_andn2_saveexec_b64 s[6:7], s[6:7]
; %bb.1747:
	s_mov_b32 s8, 0
	s_mov_b32 s9, 0x40900000
	v_ldexp_f64 v[12:13], -v[20:21], v3
	v_mov_b32_e32 v3, 0xfff00000
	v_cmp_ngt_f64_e64 vcc, |v[16:17]|, s[8:9]
	s_nop 1
	v_cndmask_b32_e32 v13, v3, v13, vcc
	v_cndmask_b32_e32 v12, 0, v12, vcc
	v_mul_f64 v[12:13], v[12:13], v[18:19]
; %bb.1748:
	s_or_b64 exec, exec, s[6:7]
                                        ; implicit-def: $vgpr16_vgpr17
.LBB9_1749:
	s_andn2_saveexec_b64 s[6:7], s[0:1]
	s_cbranch_execz .LBB9_1755
; %bb.1750:
	s_mov_b32 s0, 0
	v_and_b32_e32 v13, 0x7fffffff, v17
	v_mov_b32_e32 v12, v16
	s_mov_b32 s1, 0x40400000
	v_div_scale_f64 v[18:19], s[8:9], v[12:13], v[12:13], s[0:1]
	v_rcp_f64_e32 v[20:21], v[18:19]
	v_div_scale_f64 v[12:13], vcc, s[0:1], v[12:13], s[0:1]
	v_mov_b32_e32 v24, 0xfca7ab0c
	v_fma_f64 v[22:23], -v[18:19], v[20:21], 1.0
	v_fmac_f64_e32 v[20:21], v[20:21], v[22:23]
	v_fma_f64 v[22:23], -v[18:19], v[20:21], 1.0
	v_fmac_f64_e32 v[20:21], v[20:21], v[22:23]
	v_mul_f64 v[22:23], v[12:13], v[20:21]
	v_fma_f64 v[12:13], -v[18:19], v[22:23], v[12:13]
	v_div_fmas_f64 v[12:13], v[12:13], v[20:21], v[22:23]
	v_div_fixup_f64 v[12:13], v[12:13], |v[16:17]|, s[0:1]
	s_mov_b32 s0, 0xb352e8e6
	v_add_f64 v[12:13], v[12:13], -2.0
	v_mov_b32_e32 v18, 0xea87b950
	v_mov_b32_e32 v19, 0x3c545b8a
	s_mov_b32 s1, 0x3c61556d
	v_fmac_f64_e32 v[18:19], s[0:1], v[12:13]
	v_mov_b32_e32 v20, 0xb352e8e6
	v_mov_b32_e32 v21, 0xbc61556d
	s_mov_b32 s0, 0xb2532277
	v_fmac_f64_e32 v[20:21], v[12:13], v[18:19]
	s_mov_b32 s1, 0xbc8acea3
	v_add_f64 v[20:21], v[20:21], s[0:1]
	s_mov_b32 s0, 0x9c773320
	v_fma_f64 v[18:19], v[12:13], v[20:21], -v[18:19]
	s_mov_b32 s1, 0xbc82806c
	v_add_f64 v[18:19], v[18:19], s[0:1]
	s_mov_b32 s0, 0xfceb588a
	v_fma_f64 v[20:21], v[12:13], v[18:19], -v[20:21]
	;; [unrolled: 4-line block ×22, first 2 shown]
	s_mov_b32 s1, 0x3fe8ea18
	v_add_f64 v[12:13], v[12:13], s[0:1]
	s_mov_b32 s0, 0x652b82fe
	s_mov_b32 s1, 0x3ff71547
	v_mul_f64 v[18:19], |v[16:17]|, s[0:1]
	s_mov_b32 s0, 0xfefa39ef
	v_rndne_f64_e32 v[18:19], v[18:19]
	s_mov_b32 s1, 0xbfe62e42
	v_fma_f64 v[22:23], v[18:19], s[0:1], |v[16:17]|
	s_mov_b32 s0, 0x3b39803f
	s_mov_b32 s1, 0xbc7abc9e
	v_fmac_f64_e32 v[22:23], s[0:1], v[18:19]
	s_mov_b32 s0, 0x6a5dcb37
	v_mov_b32_e32 v25, 0x3e928af3
	s_mov_b32 s1, 0x3e5ade15
	v_fmac_f64_e32 v[24:25], s[0:1], v[22:23]
	v_mov_b32_e32 v26, 0x623fde64
	v_mov_b32_e32 v27, 0x3ec71dee
	v_fmac_f64_e32 v[26:27], v[22:23], v[24:25]
	v_mov_b32_e32 v24, 0x7c89e6b0
	v_mov_b32_e32 v25, 0x3efa0199
	;; [unrolled: 3-line block ×8, first 2 shown]
	v_fmac_f64_e32 v[24:25], v[22:23], v[26:27]
	v_fma_f64 v[24:25], v[22:23], v[24:25], 1.0
	s_mov_b32 s0, 0
	v_fma_f64 v[22:23], v[22:23], v[24:25], 1.0
	v_cvt_i32_f64_e32 v3, v[18:19]
	s_mov_b32 s1, 0x40900000
	v_ldexp_f64 v[18:19], v[22:23], v3
	v_mov_b32_e32 v3, 0x7ff00000
	v_cmp_ngt_f64_e64 s[0:1], |v[16:17]|, s[0:1]
	v_cmp_ngt_f64_e32 vcc, 0, v[16:17]
	v_add_f64 v[20:21], v[12:13], -v[20:21]
	v_cndmask_b32_e64 v19, v3, v19, s[0:1]
	v_cndmask_b32_e64 v18, 0, v18, s[0:1]
                                        ; implicit-def: $vgpr12_vgpr13
	s_and_saveexec_b64 s[0:1], vcc
	s_xor_b64 s[0:1], exec, s[0:1]
	s_cbranch_execz .LBB9_1752
; %bb.1751:
	s_mov_b32 s8, 0
	s_brev_b32 s9, 8
	v_mov_b32_e32 v3, 0x100
	v_cmp_lt_f64_e64 vcc, |v[16:17]|, s[8:9]
	v_mul_f64 v[20:21], v[20:21], 0.5
	v_mul_f64 v[18:19], v[18:19], v[20:21]
	v_cndmask_b32_e32 v3, 0, v3, vcc
	v_ldexp_f64 v[12:13], |v[16:17]|, v3
	v_rsq_f64_e32 v[16:17], v[12:13]
	v_mov_b32_e32 v3, 0xffffff80
	v_cndmask_b32_e32 v3, 0, v3, vcc
	v_mul_f64 v[20:21], v[12:13], v[16:17]
	v_mul_f64 v[16:17], v[16:17], 0.5
	v_fma_f64 v[22:23], -v[16:17], v[20:21], 0.5
	v_fmac_f64_e32 v[20:21], v[20:21], v[22:23]
	v_fma_f64 v[24:25], -v[20:21], v[20:21], v[12:13]
	v_fmac_f64_e32 v[16:17], v[16:17], v[22:23]
	v_fmac_f64_e32 v[20:21], v[24:25], v[16:17]
	v_fma_f64 v[22:23], -v[20:21], v[20:21], v[12:13]
	v_fmac_f64_e32 v[20:21], v[22:23], v[16:17]
	v_ldexp_f64 v[16:17], v[20:21], v3
	v_mov_b32_e32 v3, 0x260
	v_cmp_class_f64_e32 vcc, v[12:13], v3
	s_nop 1
	v_cndmask_b32_e32 v13, v17, v13, vcc
	v_cndmask_b32_e32 v12, v16, v12, vcc
	v_div_scale_f64 v[16:17], s[8:9], v[12:13], v[12:13], v[18:19]
	v_rcp_f64_e32 v[20:21], v[16:17]
	s_nop 0
	v_fma_f64 v[22:23], -v[16:17], v[20:21], 1.0
	v_fmac_f64_e32 v[20:21], v[20:21], v[22:23]
	v_fma_f64 v[22:23], -v[16:17], v[20:21], 1.0
	v_fmac_f64_e32 v[20:21], v[20:21], v[22:23]
	v_div_scale_f64 v[22:23], vcc, v[18:19], v[12:13], v[18:19]
	v_mul_f64 v[24:25], v[22:23], v[20:21]
	v_fma_f64 v[16:17], -v[16:17], v[24:25], v[22:23]
	s_nop 1
	v_div_fmas_f64 v[16:17], v[16:17], v[20:21], v[24:25]
	v_div_fixup_f64 v[12:13], v[16:17], v[12:13], v[18:19]
                                        ; implicit-def: $vgpr16_vgpr17
                                        ; implicit-def: $vgpr20_vgpr21
                                        ; implicit-def: $vgpr18_vgpr19
.LBB9_1752:
	s_andn2_saveexec_b64 s[0:1], s[0:1]
	s_cbranch_execz .LBB9_1754
; %bb.1753:
	s_mov_b32 s8, 0
	s_brev_b32 s9, 8
	v_mov_b32_e32 v3, 0x100
	v_cmp_lt_f64_e64 vcc, |v[16:17]|, s[8:9]
	s_nop 1
	v_cndmask_b32_e32 v3, 0, v3, vcc
	v_ldexp_f64 v[12:13], |v[16:17]|, v3
	v_rsq_f64_e32 v[16:17], v[12:13]
	v_mov_b32_e32 v3, 0xffffff80
	v_cndmask_b32_e32 v3, 0, v3, vcc
	v_mul_f64 v[22:23], v[12:13], v[16:17]
	v_mul_f64 v[16:17], v[16:17], 0.5
	v_fma_f64 v[24:25], -v[16:17], v[22:23], 0.5
	v_fmac_f64_e32 v[22:23], v[22:23], v[24:25]
	v_fma_f64 v[26:27], -v[22:23], v[22:23], v[12:13]
	v_fmac_f64_e32 v[16:17], v[16:17], v[24:25]
	v_fmac_f64_e32 v[22:23], v[26:27], v[16:17]
	v_fma_f64 v[24:25], -v[22:23], v[22:23], v[12:13]
	v_fmac_f64_e32 v[22:23], v[24:25], v[16:17]
	v_ldexp_f64 v[16:17], v[22:23], v3
	v_mov_b32_e32 v3, 0x260
	v_cmp_class_f64_e32 vcc, v[12:13], v3
	s_nop 1
	v_cndmask_b32_e32 v13, v17, v13, vcc
	v_cndmask_b32_e32 v12, v16, v12, vcc
	v_mul_f64 v[16:17], v[20:21], -0.5
	v_mul_f64 v[16:17], v[18:19], v[16:17]
	v_div_scale_f64 v[18:19], s[8:9], v[12:13], v[12:13], v[16:17]
	v_rcp_f64_e32 v[20:21], v[18:19]
	s_nop 0
	v_fma_f64 v[22:23], -v[18:19], v[20:21], 1.0
	v_fmac_f64_e32 v[20:21], v[20:21], v[22:23]
	v_fma_f64 v[22:23], -v[18:19], v[20:21], 1.0
	v_fmac_f64_e32 v[20:21], v[20:21], v[22:23]
	v_div_scale_f64 v[22:23], vcc, v[16:17], v[12:13], v[16:17]
	v_mul_f64 v[24:25], v[22:23], v[20:21]
	v_fma_f64 v[18:19], -v[18:19], v[24:25], v[22:23]
	s_nop 1
	v_div_fmas_f64 v[18:19], v[18:19], v[20:21], v[24:25]
	v_div_fixup_f64 v[12:13], v[18:19], v[12:13], v[16:17]
.LBB9_1754:
	s_or_b64 exec, exec, s[0:1]
.LBB9_1755:
	s_or_b64 exec, exec, s[6:7]
	s_bfe_u32 s14, s16, 0x80008
	v_mov_b32_e32 v3, 0
	s_cmp_lt_i32 s14, 11
	v_lshl_add_u64 v[16:17], s[4:5], 0, v[2:3]
	s_cbranch_scc1 .LBB9_1879
; %bb.1756:
	s_and_b32 s15, 0xffff, s14
	s_mov_b64 s[10:11], -1
	s_mov_b64 s[6:7], 0
	s_cmp_gt_i32 s15, 25
	s_mov_b64 s[8:9], 0
	s_mov_b64 s[0:1], 0
	s_cbranch_scc0 .LBB9_1789
; %bb.1757:
	s_cmp_gt_i32 s15, 28
	s_cbranch_scc0 .LBB9_1772
; %bb.1758:
	s_cmp_gt_i32 s15, 43
	;; [unrolled: 3-line block ×3, first 2 shown]
	s_cbranch_scc0 .LBB9_1762
; %bb.1760:
	s_mov_b64 s[0:1], -1
	s_mov_b64 s[10:11], 0
	s_cmp_eq_u32 s15, 46
	s_cbranch_scc0 .LBB9_1762
; %bb.1761:
	v_cvt_f32_f64_e32 v2, v[0:1]
	v_bfe_u32 v3, v2, 16, 1
	s_movk_i32 s0, 0x7fff
	v_add3_u32 v3, v2, v3, s0
	v_cmp_o_f32_e32 vcc, v2, v2
	v_mov_b32_e32 v2, 0x7fc0
	s_mov_b64 s[0:1], 0
	v_cndmask_b32_sdwa v2, v2, v3, vcc dst_sel:DWORD dst_unused:UNUSED_PAD src0_sel:DWORD src1_sel:WORD_1
	global_store_dword v[16:17], v2, off
	s_mov_b64 s[8:9], -1
.LBB9_1762:
	s_and_b64 vcc, exec, s[10:11]
	s_cbranch_vccz .LBB9_1767
; %bb.1763:
	s_cmp_eq_u32 s15, 44
	s_mov_b64 s[0:1], -1
	s_cbranch_scc0 .LBB9_1767
; %bb.1764:
	v_cvt_f32_f64_e32 v2, v[0:1]
	v_bfe_u32 v3, v2, 23, 8
	s_movk_i32 s0, 0xff
	v_cmp_ne_u32_e32 vcc, s0, v3
	v_mov_b32_e32 v7, 0xff
	s_and_saveexec_b64 s[8:9], vcc
; %bb.1765:
	s_mov_b32 s0, 0x3fffff
	v_lshrrev_b32_e32 v7, 23, v2
	v_and_b32_e32 v11, 0x400000, v2
	v_and_or_b32 v2, v2, s0, v3
	v_cmp_ne_u32_e32 vcc, 0, v11
	v_cmp_ne_u32_e64 s[0:1], 0, v2
	s_and_b64 s[0:1], vcc, s[0:1]
	s_nop 0
	v_cndmask_b32_e64 v2, 0, 1, s[0:1]
	v_add_u32_e32 v7, v7, v2
; %bb.1766:
	s_or_b64 exec, exec, s[8:9]
	s_mov_b64 s[0:1], 0
	s_mov_b64 s[8:9], -1
	global_store_byte v[16:17], v7, off
.LBB9_1767:
	s_mov_b64 s[10:11], 0
.LBB9_1768:
	s_and_b64 vcc, exec, s[10:11]
	s_cbranch_vccz .LBB9_1771
; %bb.1769:
	s_cmp_eq_u32 s15, 29
	s_mov_b64 s[0:1], -1
	s_cbranch_scc0 .LBB9_1771
; %bb.1770:
	v_trunc_f64_e32 v[2:3], v[0:1]
	s_movk_i32 s0, 0xffe0
	v_ldexp_f64 v[18:19], v[2:3], s0
	v_floor_f64_e32 v[18:19], v[18:19]
	v_fmac_f64_e32 v[2:3], 0xc1f00000, v[18:19]
	v_cvt_u32_f64_e32 v21, v[18:19]
	v_cvt_u32_f64_e32 v20, v[2:3]
	global_store_dwordx2 v[16:17], v[20:21], off
	s_mov_b64 s[0:1], 0
	s_mov_b64 s[8:9], -1
.LBB9_1771:
	s_mov_b64 s[10:11], 0
.LBB9_1772:
	s_and_b64 vcc, exec, s[10:11]
	s_cbranch_vccz .LBB9_1788
; %bb.1773:
	s_cmp_lt_i32 s15, 27
	s_mov_b64 s[8:9], -1
	s_cbranch_scc1 .LBB9_1779
; %bb.1774:
	s_cmp_gt_i32 s15, 27
	v_cvt_u32_f64_e32 v2, v[0:1]
	s_cbranch_scc0 .LBB9_1776
; %bb.1775:
	s_mov_b64 s[8:9], 0
	global_store_dword v[16:17], v2, off
.LBB9_1776:
	s_andn2_b64 vcc, exec, s[8:9]
	s_cbranch_vccnz .LBB9_1778
; %bb.1777:
	global_store_short v[16:17], v2, off
.LBB9_1778:
	s_mov_b64 s[8:9], 0
.LBB9_1779:
	s_andn2_b64 vcc, exec, s[8:9]
	s_cbranch_vccnz .LBB9_1787
; %bb.1780:
	v_cvt_f32_f64_e32 v2, v[0:1]
	v_and_b32_e32 v3, 0x7fffffff, v2
	s_mov_b32 s8, 0x43800000
	v_cmp_gt_u32_e32 vcc, s8, v3
	v_mov_b32_e32 v7, 0x80
	s_and_saveexec_b64 s[8:9], vcc
	s_cbranch_execz .LBB9_1786
; %bb.1781:
	s_mov_b32 s10, 0x3bffffff
	v_cmp_lt_u32_e32 vcc, s10, v3
	s_mov_b64 s[10:11], 0
                                        ; implicit-def: $vgpr3
	s_and_saveexec_b64 s[12:13], vcc
	s_xor_b64 s[12:13], exec, s[12:13]
	s_cbranch_execz .LBB9_2237
; %bb.1782:
	v_bfe_u32 v3, v2, 20, 1
	s_mov_b32 s17, 0x487ffff
	v_add3_u32 v3, v2, v3, s17
	s_mov_b64 s[10:11], exec
	v_lshrrev_b32_e32 v3, 20, v3
	s_andn2_saveexec_b64 s[12:13], s[12:13]
	s_cbranch_execnz .LBB9_2238
.LBB9_1783:
	s_or_b64 exec, exec, s[12:13]
	v_mov_b32_e32 v7, 0
	s_and_saveexec_b64 s[12:13], s[10:11]
.LBB9_1784:
	v_lshrrev_b32_e32 v2, 24, v2
	s_movk_i32 s10, 0x80
	v_and_or_b32 v7, v2, s10, v3
.LBB9_1785:
	s_or_b64 exec, exec, s[12:13]
.LBB9_1786:
	s_or_b64 exec, exec, s[8:9]
	global_store_byte v[16:17], v7, off
.LBB9_1787:
	s_mov_b64 s[8:9], -1
.LBB9_1788:
	s_mov_b64 s[10:11], 0
.LBB9_1789:
	s_and_b64 vcc, exec, s[10:11]
	s_cbranch_vccz .LBB9_1829
; %bb.1790:
	s_cmp_gt_i32 s15, 22
	s_mov_b64 s[6:7], -1
	s_cbranch_scc0 .LBB9_1822
; %bb.1791:
	s_cmp_lt_i32 s15, 24
	s_cbranch_scc1 .LBB9_1811
; %bb.1792:
	s_cmp_gt_i32 s15, 24
	s_cbranch_scc0 .LBB9_1800
; %bb.1793:
	v_cvt_f32_f64_e32 v2, v[0:1]
	v_and_b32_e32 v3, 0x7fffffff, v2
	s_mov_b32 s6, 0x47800000
	v_cmp_gt_u32_e32 vcc, s6, v3
	v_mov_b32_e32 v7, 0x80
	s_and_saveexec_b64 s[6:7], vcc
	s_cbranch_execz .LBB9_1799
; %bb.1794:
	s_mov_b32 s8, 0x37ffffff
	v_cmp_lt_u32_e32 vcc, s8, v3
	s_mov_b64 s[8:9], 0
                                        ; implicit-def: $vgpr3
	s_and_saveexec_b64 s[10:11], vcc
	s_xor_b64 s[10:11], exec, s[10:11]
	s_cbranch_execz .LBB9_2240
; %bb.1795:
	v_bfe_u32 v3, v2, 21, 1
	s_mov_b32 s12, 0x88fffff
	v_add3_u32 v3, v2, v3, s12
	s_mov_b64 s[8:9], exec
	v_lshrrev_b32_e32 v3, 21, v3
	s_andn2_saveexec_b64 s[10:11], s[10:11]
	s_cbranch_execnz .LBB9_2241
.LBB9_1796:
	s_or_b64 exec, exec, s[10:11]
	v_mov_b32_e32 v7, 0
	s_and_saveexec_b64 s[10:11], s[8:9]
.LBB9_1797:
	v_lshrrev_b32_e32 v2, 24, v2
	s_movk_i32 s8, 0x80
	v_and_or_b32 v7, v2, s8, v3
.LBB9_1798:
	s_or_b64 exec, exec, s[10:11]
.LBB9_1799:
	s_or_b64 exec, exec, s[6:7]
	s_mov_b64 s[6:7], 0
	global_store_byte v[16:17], v7, off
.LBB9_1800:
	s_and_b64 vcc, exec, s[6:7]
	s_cbranch_vccz .LBB9_1810
; %bb.1801:
	v_cvt_f32_f64_e32 v2, v[0:1]
	v_and_b32_e32 v7, 0x7fffffff, v2
	s_mov_b32 s6, 0x43f00000
	v_cmp_gt_u32_e32 vcc, s6, v7
                                        ; implicit-def: $vgpr3
	s_and_saveexec_b64 s[6:7], vcc
	s_xor_b64 s[6:7], exec, s[6:7]
	s_cbranch_execz .LBB9_1807
; %bb.1802:
	s_mov_b32 s8, 0x3c7fffff
	v_cmp_lt_u32_e32 vcc, s8, v7
                                        ; implicit-def: $vgpr3
	s_and_saveexec_b64 s[8:9], vcc
	s_xor_b64 s[8:9], exec, s[8:9]
; %bb.1803:
	v_bfe_u32 v3, v2, 20, 1
	s_mov_b32 s10, 0x407ffff
	v_add3_u32 v3, v2, v3, s10
	v_lshrrev_b32_e32 v7, 20, v3
	v_and_b32_e32 v3, 0xff00000, v3
	s_mov_b32 s10, 0x7f00000
	v_mov_b32_e32 v11, 0x7e
	v_cmp_ne_u32_e32 vcc, s10, v3
	s_nop 1
	v_cndmask_b32_e32 v3, v11, v7, vcc
; %bb.1804:
	s_andn2_saveexec_b64 s[8:9], s[8:9]
; %bb.1805:
	s_mov_b32 s10, 0x46800000
	v_add_f32_e64 v3, |v2|, s10
; %bb.1806:
	s_or_b64 exec, exec, s[8:9]
                                        ; implicit-def: $vgpr7
.LBB9_1807:
	s_andn2_saveexec_b64 s[6:7], s[6:7]
; %bb.1808:
	s_mov_b32 s8, 0x7f800000
	v_mov_b32_e32 v3, 0x7e
	v_mov_b32_e32 v11, 0x7f
	v_cmp_lt_u32_e32 vcc, s8, v7
	s_nop 1
	v_cndmask_b32_e32 v3, v3, v11, vcc
; %bb.1809:
	s_or_b64 exec, exec, s[6:7]
	v_lshrrev_b32_e32 v2, 24, v2
	s_movk_i32 s6, 0x80
	v_and_or_b32 v2, v2, s6, v3
	global_store_byte v[16:17], v2, off
.LBB9_1810:
	s_mov_b64 s[6:7], 0
.LBB9_1811:
	s_andn2_b64 vcc, exec, s[6:7]
	s_cbranch_vccnz .LBB9_1821
; %bb.1812:
	v_cvt_f32_f64_e32 v2, v[0:1]
	v_and_b32_e32 v7, 0x7fffffff, v2
	s_mov_b32 s6, 0x47800000
	v_cmp_gt_u32_e32 vcc, s6, v7
                                        ; implicit-def: $vgpr3
	s_and_saveexec_b64 s[6:7], vcc
	s_xor_b64 s[6:7], exec, s[6:7]
	s_cbranch_execz .LBB9_1818
; %bb.1813:
	s_mov_b32 s8, 0x387fffff
	v_cmp_lt_u32_e32 vcc, s8, v7
                                        ; implicit-def: $vgpr3
	s_and_saveexec_b64 s[8:9], vcc
	s_xor_b64 s[8:9], exec, s[8:9]
; %bb.1814:
	v_bfe_u32 v3, v2, 21, 1
	s_mov_b32 s10, 0x80fffff
	v_add3_u32 v3, v2, v3, s10
	v_lshrrev_b32_e32 v3, 21, v3
; %bb.1815:
	s_andn2_saveexec_b64 s[8:9], s[8:9]
; %bb.1816:
	s_mov_b32 s10, 0x43000000
	v_add_f32_e64 v3, |v2|, s10
; %bb.1817:
	s_or_b64 exec, exec, s[8:9]
                                        ; implicit-def: $vgpr7
.LBB9_1818:
	s_andn2_saveexec_b64 s[6:7], s[6:7]
; %bb.1819:
	s_mov_b32 s8, 0x7f800000
	v_mov_b32_e32 v3, 0x7c
	v_mov_b32_e32 v11, 0x7f
	v_cmp_lt_u32_e32 vcc, s8, v7
	s_nop 1
	v_cndmask_b32_e32 v3, v3, v11, vcc
; %bb.1820:
	s_or_b64 exec, exec, s[6:7]
	v_lshrrev_b32_e32 v2, 24, v2
	s_movk_i32 s6, 0x80
	v_and_or_b32 v2, v2, s6, v3
	global_store_byte v[16:17], v2, off
.LBB9_1821:
	s_mov_b64 s[6:7], 0
	s_mov_b64 s[8:9], -1
.LBB9_1822:
	s_andn2_b64 vcc, exec, s[6:7]
	s_mov_b64 s[6:7], 0
	s_cbranch_vccnz .LBB9_1829
; %bb.1823:
	s_cmp_gt_i32 s15, 14
	s_mov_b64 s[10:11], -1
	s_cbranch_scc0 .LBB9_1827
; %bb.1824:
	s_cmp_eq_u32 s15, 15
	s_mov_b64 s[0:1], -1
	s_cbranch_scc0 .LBB9_1826
; %bb.1825:
	v_cvt_f32_f64_e32 v2, v[0:1]
	v_bfe_u32 v3, v2, 16, 1
	s_movk_i32 s0, 0x7fff
	v_add3_u32 v3, v2, v3, s0
	v_cmp_o_f32_e32 vcc, v2, v2
	v_mov_b32_e32 v2, 0x7fc0
	s_mov_b64 s[0:1], 0
	v_cndmask_b32_sdwa v2, v2, v3, vcc dst_sel:DWORD dst_unused:UNUSED_PAD src0_sel:DWORD src1_sel:WORD_1
	global_store_short v[16:17], v2, off
	s_mov_b64 s[8:9], -1
.LBB9_1826:
	s_mov_b64 s[10:11], 0
.LBB9_1827:
	s_and_b64 vcc, exec, s[10:11]
	s_cbranch_vccz .LBB9_1829
; %bb.1828:
	s_cmp_lg_u32 s15, 11
	s_mov_b64 s[6:7], -1
	s_cselect_b64 s[0:1], -1, 0
.LBB9_1829:
	s_and_b64 vcc, exec, s[0:1]
	s_cbranch_vccnz .LBB9_2239
; %bb.1830:
	s_andn2_b64 vcc, exec, s[6:7]
	s_cbranch_vccnz .LBB9_1832
.LBB9_1831:
	v_cmp_neq_f64_e32 vcc, 0, v[0:1]
	s_mov_b64 s[8:9], -1
	s_nop 0
	v_cndmask_b32_e64 v2, 0, 1, vcc
	global_store_byte v[16:17], v2, off
.LBB9_1832:
	s_mov_b64 s[0:1], 0
	s_branch .LBB9_1880
.LBB9_1833:
	s_mov_b64 s[0:1], 0
                                        ; implicit-def: $vgpr0_vgpr1
                                        ; implicit-def: $sgpr14
                                        ; implicit-def: $vgpr12_vgpr13
.LBB9_1834:
	s_mov_b64 s[4:5], 0
.LBB9_1835:
	s_and_b64 s[6:7], s[0:1], exec
	s_andn2_b64 s[0:1], s[24:25], exec
	s_and_b64 s[2:3], s[2:3], exec
	s_and_b64 s[40:41], s[4:5], exec
	s_or_b64 s[24:25], s[0:1], s[2:3]
.LBB9_1836:
	s_or_b64 exec, exec, s[26:27]
	s_and_saveexec_b64 s[0:1], s[24:25]
	s_cbranch_execz .LBB9_1839
; %bb.1837:
	; divergent unreachable
	s_or_b64 exec, exec, s[0:1]
	s_and_saveexec_b64 s[0:1], s[40:41]
	s_xor_b64 s[0:1], exec, s[0:1]
	s_cbranch_execnz .LBB9_1840
.LBB9_1838:
	s_or_b64 exec, exec, s[0:1]
	s_and_saveexec_b64 s[0:1], s[6:7]
	s_cbranch_execnz .LBB9_1841
	s_branch .LBB9_1878
.LBB9_1839:
	s_or_b64 exec, exec, s[0:1]
	s_and_saveexec_b64 s[0:1], s[40:41]
	s_xor_b64 s[0:1], exec, s[0:1]
	s_cbranch_execz .LBB9_1838
.LBB9_1840:
	v_cmp_neq_f64_e32 vcc, 0, v[12:13]
	s_nop 1
	v_cndmask_b32_e64 v2, 0, 1, vcc
	global_store_byte v[0:1], v2, off
	s_or_b64 exec, exec, s[0:1]
	s_and_saveexec_b64 s[0:1], s[6:7]
	s_cbranch_execz .LBB9_1878
.LBB9_1841:
	s_sext_i32_i16 s2, s14
	s_cmp_lt_i32 s2, 5
	s_mov_b64 s[0:1], -1
	s_cbranch_scc1 .LBB9_1862
; %bb.1842:
	s_cmp_lt_i32 s2, 8
	s_cbranch_scc1 .LBB9_1852
; %bb.1843:
	s_cmp_lt_i32 s2, 9
	s_cbranch_scc1 .LBB9_1849
; %bb.1844:
	s_cmp_gt_i32 s2, 9
	s_cbranch_scc0 .LBB9_1846
; %bb.1845:
	v_mov_b32_e32 v14, 0
	v_mov_b32_e32 v15, v14
	global_store_dwordx4 v[0:1], v[12:15], off
	s_mov_b64 s[0:1], 0
.LBB9_1846:
	s_andn2_b64 vcc, exec, s[0:1]
	s_cbranch_vccnz .LBB9_1848
; %bb.1847:
	v_cvt_f32_f64_e32 v2, v[12:13]
	v_mov_b32_e32 v3, 0
	global_store_dwordx2 v[0:1], v[2:3], off
.LBB9_1848:
	s_mov_b64 s[0:1], 0
.LBB9_1849:
	s_andn2_b64 vcc, exec, s[0:1]
	s_cbranch_vccnz .LBB9_1851
; %bb.1850:
	s_movk_i32 s0, 0x1ff
	v_and_or_b32 v2, v13, s0, v12
	v_cmp_ne_u32_e32 vcc, 0, v2
	v_lshrrev_b32_e32 v3, 8, v13
	s_movk_i32 s0, 0xffe
	v_cndmask_b32_e64 v2, 0, 1, vcc
	s_waitcnt vmcnt(0)
	v_bfe_u32 v4, v13, 20, 11
	v_and_or_b32 v2, v3, s0, v2
	v_sub_u32_e32 v5, 0x3f1, v4
	v_or_b32_e32 v3, 0x1000, v2
	v_med3_i32 v5, v5, 0, 13
	v_lshrrev_b32_e32 v6, v5, v3
	v_lshlrev_b32_e32 v5, v5, v6
	v_cmp_ne_u32_e32 vcc, v5, v3
	v_add_u32_e32 v4, 0xfffffc10, v4
	v_lshl_or_b32 v5, v4, 12, v2
	v_cndmask_b32_e64 v3, 0, 1, vcc
	v_or_b32_e32 v3, v6, v3
	v_cmp_gt_i32_e32 vcc, 1, v4
	s_movk_i32 s0, 0x40f
	s_nop 0
	v_cndmask_b32_e32 v3, v5, v3, vcc
	v_and_b32_e32 v5, 7, v3
	v_cmp_lt_i32_e32 vcc, 5, v5
	v_lshrrev_b32_e32 v3, 2, v3
	s_nop 0
	v_cndmask_b32_e64 v6, 0, 1, vcc
	v_cmp_eq_u32_e32 vcc, 3, v5
	s_nop 1
	v_cndmask_b32_e64 v5, 0, 1, vcc
	v_or_b32_e32 v5, v5, v6
	v_add_u32_e32 v3, v3, v5
	v_mov_b32_e32 v5, 0x7c00
	v_cmp_gt_i32_e32 vcc, 31, v4
	v_mov_b32_e32 v6, 0x7e00
	s_nop 0
	v_cndmask_b32_e32 v3, v5, v3, vcc
	v_cmp_ne_u32_e32 vcc, 0, v2
	s_nop 1
	v_cndmask_b32_e32 v2, v5, v6, vcc
	v_cmp_eq_u32_e32 vcc, s0, v4
	s_mov_b32 s0, 0x8000
	s_nop 0
	v_cndmask_b32_e32 v2, v3, v2, vcc
	v_and_b32_sdwa v3, v13, s0 dst_sel:DWORD dst_unused:UNUSED_PAD src0_sel:WORD_1 src1_sel:DWORD
	s_mov_b32 s0, 0xffff
	v_bitop3_b32 v2, v3, s0, v2 bitop3:0xc8
	global_store_dword v[0:1], v2, off
.LBB9_1851:
	s_mov_b64 s[0:1], 0
.LBB9_1852:
	s_andn2_b64 vcc, exec, s[0:1]
	s_cbranch_vccnz .LBB9_1861
; %bb.1853:
	s_sext_i32_i16 s2, s14
	s_cmp_lt_i32 s2, 6
	s_mov_b64 s[0:1], -1
	s_cbranch_scc1 .LBB9_1859
; %bb.1854:
	s_cmp_gt_i32 s2, 6
	s_cbranch_scc0 .LBB9_1856
; %bb.1855:
	global_store_dwordx2 v[0:1], v[12:13], off
	s_mov_b64 s[0:1], 0
.LBB9_1856:
	s_andn2_b64 vcc, exec, s[0:1]
	s_cbranch_vccnz .LBB9_1858
; %bb.1857:
	v_cvt_f32_f64_e32 v2, v[12:13]
	global_store_dword v[0:1], v2, off
.LBB9_1858:
	s_mov_b64 s[0:1], 0
.LBB9_1859:
	s_andn2_b64 vcc, exec, s[0:1]
	s_cbranch_vccnz .LBB9_1861
; %bb.1860:
	s_movk_i32 s0, 0x1ff
	v_and_or_b32 v2, v13, s0, v12
	v_cmp_ne_u32_e32 vcc, 0, v2
	v_lshrrev_b32_e32 v3, 8, v13
	s_movk_i32 s0, 0xffe
	v_cndmask_b32_e64 v2, 0, 1, vcc
	s_waitcnt vmcnt(0)
	v_bfe_u32 v4, v13, 20, 11
	v_and_or_b32 v2, v3, s0, v2
	v_sub_u32_e32 v5, 0x3f1, v4
	v_or_b32_e32 v3, 0x1000, v2
	v_med3_i32 v5, v5, 0, 13
	v_lshrrev_b32_e32 v6, v5, v3
	v_lshlrev_b32_e32 v5, v5, v6
	v_cmp_ne_u32_e32 vcc, v5, v3
	v_add_u32_e32 v4, 0xfffffc10, v4
	v_lshl_or_b32 v5, v4, 12, v2
	v_cndmask_b32_e64 v3, 0, 1, vcc
	v_or_b32_e32 v3, v6, v3
	v_cmp_gt_i32_e32 vcc, 1, v4
	s_movk_i32 s0, 0x40f
	s_nop 0
	v_cndmask_b32_e32 v3, v5, v3, vcc
	v_and_b32_e32 v5, 7, v3
	v_cmp_lt_i32_e32 vcc, 5, v5
	v_lshrrev_b32_e32 v3, 2, v3
	s_nop 0
	v_cndmask_b32_e64 v6, 0, 1, vcc
	v_cmp_eq_u32_e32 vcc, 3, v5
	s_nop 1
	v_cndmask_b32_e64 v5, 0, 1, vcc
	v_or_b32_e32 v5, v5, v6
	v_add_u32_e32 v3, v3, v5
	v_mov_b32_e32 v5, 0x7c00
	v_cmp_gt_i32_e32 vcc, 31, v4
	v_mov_b32_e32 v6, 0x7e00
	s_nop 0
	v_cndmask_b32_e32 v3, v5, v3, vcc
	v_cmp_ne_u32_e32 vcc, 0, v2
	s_nop 1
	v_cndmask_b32_e32 v2, v5, v6, vcc
	v_cmp_eq_u32_e32 vcc, s0, v4
	s_mov_b32 s0, 0x8000
	s_nop 0
	v_cndmask_b32_e32 v2, v3, v2, vcc
	v_lshrrev_b32_e32 v3, 16, v13
	v_and_or_b32 v2, v3, s0, v2
	global_store_short v[0:1], v2, off
.LBB9_1861:
	s_mov_b64 s[0:1], 0
.LBB9_1862:
	s_andn2_b64 vcc, exec, s[0:1]
	s_cbranch_vccnz .LBB9_1878
; %bb.1863:
	s_sext_i32_i16 s2, s14
	s_cmp_lt_i32 s2, 2
	s_mov_b64 s[0:1], -1
	s_cbranch_scc1 .LBB9_1873
; %bb.1864:
	s_cmp_lt_i32 s2, 3
	s_cbranch_scc1 .LBB9_1870
; %bb.1865:
	s_cmp_gt_i32 s2, 3
	s_cbranch_scc0 .LBB9_1867
; %bb.1866:
	v_trunc_f64_e32 v[2:3], v[12:13]
	s_movk_i32 s0, 0xffe0
	s_waitcnt vmcnt(0)
	v_ldexp_f64 v[4:5], v[2:3], s0
	v_floor_f64_e32 v[4:5], v[4:5]
	v_fmac_f64_e32 v[2:3], 0xc1f00000, v[4:5]
	v_cvt_i32_f64_e32 v7, v[4:5]
	v_cvt_u32_f64_e32 v6, v[2:3]
	global_store_dwordx2 v[0:1], v[6:7], off
	s_mov_b64 s[0:1], 0
.LBB9_1867:
	s_andn2_b64 vcc, exec, s[0:1]
	s_cbranch_vccnz .LBB9_1869
; %bb.1868:
	v_cvt_i32_f64_e32 v2, v[12:13]
	global_store_dword v[0:1], v2, off
.LBB9_1869:
	s_mov_b64 s[0:1], 0
.LBB9_1870:
	s_andn2_b64 vcc, exec, s[0:1]
	s_cbranch_vccnz .LBB9_1872
; %bb.1871:
	v_cvt_i32_f64_e32 v2, v[12:13]
	global_store_short v[0:1], v2, off
.LBB9_1872:
	s_mov_b64 s[0:1], 0
.LBB9_1873:
	s_andn2_b64 vcc, exec, s[0:1]
	s_cbranch_vccnz .LBB9_1878
; %bb.1874:
	s_sext_i32_i16 s0, s14
	s_cmp_gt_i32 s0, 0
	s_mov_b64 s[0:1], -1
	s_cbranch_scc0 .LBB9_1876
; %bb.1875:
	v_cvt_i32_f64_e32 v2, v[12:13]
	global_store_byte v[0:1], v2, off
	s_mov_b64 s[0:1], 0
.LBB9_1876:
	s_andn2_b64 vcc, exec, s[0:1]
	s_cbranch_vccnz .LBB9_1878
; %bb.1877:
	v_trunc_f64_e32 v[2:3], v[12:13]
	s_movk_i32 s0, 0xffe0
	s_waitcnt vmcnt(0)
	v_ldexp_f64 v[4:5], v[2:3], s0
	v_floor_f64_e32 v[4:5], v[4:5]
	v_fmac_f64_e32 v[2:3], 0xc1f00000, v[4:5]
	v_cvt_u32_f64_e32 v2, v[2:3]
	global_store_byte v[0:1], v2, off
	s_endpgm
.LBB9_1878:
	s_endpgm
.LBB9_1879:
	s_mov_b64 s[0:1], -1
	s_mov_b64 s[8:9], 0
.LBB9_1880:
	s_and_b64 vcc, exec, s[0:1]
	s_cbranch_vccz .LBB9_1919
; %bb.1881:
	s_and_b32 s6, 0xffff, s14
	s_cmp_lt_i32 s6, 5
	s_mov_b64 s[0:1], -1
	s_cbranch_scc1 .LBB9_1902
; %bb.1882:
	s_cmp_lt_i32 s6, 8
	s_cbranch_scc1 .LBB9_1892
; %bb.1883:
	s_cmp_lt_i32 s6, 9
	s_cbranch_scc1 .LBB9_1889
; %bb.1884:
	s_cmp_gt_i32 s6, 9
	s_cbranch_scc0 .LBB9_1886
; %bb.1885:
	v_mov_b32_e32 v2, 0
	v_mov_b32_e32 v3, v2
	global_store_dwordx4 v[16:17], v[0:3], off
	s_mov_b64 s[0:1], 0
.LBB9_1886:
	s_andn2_b64 vcc, exec, s[0:1]
	s_cbranch_vccnz .LBB9_1888
; %bb.1887:
	v_cvt_f32_f64_e32 v2, v[0:1]
	v_mov_b32_e32 v3, 0
	global_store_dwordx2 v[16:17], v[2:3], off
.LBB9_1888:
	s_mov_b64 s[0:1], 0
.LBB9_1889:
	s_andn2_b64 vcc, exec, s[0:1]
	s_cbranch_vccnz .LBB9_1891
; %bb.1890:
	s_movk_i32 s0, 0x1ff
	v_and_or_b32 v2, v1, s0, v0
	v_cmp_ne_u32_e32 vcc, 0, v2
	v_lshrrev_b32_e32 v3, 8, v1
	s_movk_i32 s0, 0xffe
	v_cndmask_b32_e64 v2, 0, 1, vcc
	v_bfe_u32 v7, v1, 20, 11
	v_and_or_b32 v2, v3, s0, v2
	v_sub_u32_e32 v11, 0x3f1, v7
	v_or_b32_e32 v3, 0x1000, v2
	v_med3_i32 v11, v11, 0, 13
	v_lshrrev_b32_e32 v15, v11, v3
	v_lshlrev_b32_e32 v11, v11, v15
	v_cmp_ne_u32_e32 vcc, v11, v3
	v_add_u32_e32 v7, 0xfffffc10, v7
	v_lshl_or_b32 v11, v7, 12, v2
	v_cndmask_b32_e64 v3, 0, 1, vcc
	v_or_b32_e32 v3, v15, v3
	v_cmp_gt_i32_e32 vcc, 1, v7
	s_movk_i32 s0, 0x40f
	s_nop 0
	v_cndmask_b32_e32 v3, v11, v3, vcc
	v_and_b32_e32 v11, 7, v3
	v_cmp_lt_i32_e32 vcc, 5, v11
	v_lshrrev_b32_e32 v3, 2, v3
	s_nop 0
	v_cndmask_b32_e64 v15, 0, 1, vcc
	v_cmp_eq_u32_e32 vcc, 3, v11
	s_nop 1
	v_cndmask_b32_e64 v11, 0, 1, vcc
	v_or_b32_e32 v11, v11, v15
	v_add_u32_e32 v3, v3, v11
	v_mov_b32_e32 v11, 0x7c00
	v_cmp_gt_i32_e32 vcc, 31, v7
	v_mov_b32_e32 v15, 0x7e00
	s_nop 0
	v_cndmask_b32_e32 v3, v11, v3, vcc
	v_cmp_ne_u32_e32 vcc, 0, v2
	s_nop 1
	v_cndmask_b32_e32 v2, v11, v15, vcc
	v_cmp_eq_u32_e32 vcc, s0, v7
	s_mov_b32 s0, 0x8000
	s_nop 0
	v_cndmask_b32_e32 v2, v3, v2, vcc
	v_and_b32_sdwa v3, v1, s0 dst_sel:DWORD dst_unused:UNUSED_PAD src0_sel:WORD_1 src1_sel:DWORD
	s_mov_b32 s0, 0xffff
	v_bitop3_b32 v2, v3, s0, v2 bitop3:0xc8
	global_store_dword v[16:17], v2, off
.LBB9_1891:
	s_mov_b64 s[0:1], 0
.LBB9_1892:
	s_andn2_b64 vcc, exec, s[0:1]
	s_cbranch_vccnz .LBB9_1901
; %bb.1893:
	s_cmp_lt_i32 s6, 6
	s_mov_b64 s[0:1], -1
	s_cbranch_scc1 .LBB9_1899
; %bb.1894:
	s_cmp_gt_i32 s6, 6
	s_cbranch_scc0 .LBB9_1896
; %bb.1895:
	global_store_dwordx2 v[16:17], v[0:1], off
	s_mov_b64 s[0:1], 0
.LBB9_1896:
	s_andn2_b64 vcc, exec, s[0:1]
	s_cbranch_vccnz .LBB9_1898
; %bb.1897:
	v_cvt_f32_f64_e32 v2, v[0:1]
	global_store_dword v[16:17], v2, off
.LBB9_1898:
	s_mov_b64 s[0:1], 0
.LBB9_1899:
	s_andn2_b64 vcc, exec, s[0:1]
	s_cbranch_vccnz .LBB9_1901
; %bb.1900:
	s_movk_i32 s0, 0x1ff
	v_and_or_b32 v2, v1, s0, v0
	v_cmp_ne_u32_e32 vcc, 0, v2
	v_lshrrev_b32_e32 v3, 8, v1
	s_movk_i32 s0, 0xffe
	v_cndmask_b32_e64 v2, 0, 1, vcc
	v_bfe_u32 v7, v1, 20, 11
	v_and_or_b32 v2, v3, s0, v2
	v_sub_u32_e32 v11, 0x3f1, v7
	v_or_b32_e32 v3, 0x1000, v2
	v_med3_i32 v11, v11, 0, 13
	v_lshrrev_b32_e32 v15, v11, v3
	v_lshlrev_b32_e32 v11, v11, v15
	v_cmp_ne_u32_e32 vcc, v11, v3
	v_add_u32_e32 v7, 0xfffffc10, v7
	v_lshl_or_b32 v11, v7, 12, v2
	v_cndmask_b32_e64 v3, 0, 1, vcc
	v_or_b32_e32 v3, v15, v3
	v_cmp_gt_i32_e32 vcc, 1, v7
	s_movk_i32 s0, 0x40f
	s_nop 0
	v_cndmask_b32_e32 v3, v11, v3, vcc
	v_and_b32_e32 v11, 7, v3
	v_cmp_lt_i32_e32 vcc, 5, v11
	v_lshrrev_b32_e32 v3, 2, v3
	s_nop 0
	v_cndmask_b32_e64 v15, 0, 1, vcc
	v_cmp_eq_u32_e32 vcc, 3, v11
	s_nop 1
	v_cndmask_b32_e64 v11, 0, 1, vcc
	v_or_b32_e32 v11, v11, v15
	v_add_u32_e32 v3, v3, v11
	v_mov_b32_e32 v11, 0x7c00
	v_cmp_gt_i32_e32 vcc, 31, v7
	v_mov_b32_e32 v15, 0x7e00
	s_nop 0
	v_cndmask_b32_e32 v3, v11, v3, vcc
	v_cmp_ne_u32_e32 vcc, 0, v2
	s_nop 1
	v_cndmask_b32_e32 v2, v11, v15, vcc
	v_cmp_eq_u32_e32 vcc, s0, v7
	s_mov_b32 s0, 0x8000
	s_nop 0
	v_cndmask_b32_e32 v2, v3, v2, vcc
	v_lshrrev_b32_e32 v3, 16, v1
	v_and_or_b32 v2, v3, s0, v2
	global_store_short v[16:17], v2, off
.LBB9_1901:
	s_mov_b64 s[0:1], 0
.LBB9_1902:
	s_andn2_b64 vcc, exec, s[0:1]
	s_cbranch_vccnz .LBB9_1918
; %bb.1903:
	s_cmp_lt_i32 s6, 2
	s_mov_b64 s[0:1], -1
	s_cbranch_scc1 .LBB9_1913
; %bb.1904:
	s_cmp_lt_i32 s6, 3
	s_cbranch_scc1 .LBB9_1910
; %bb.1905:
	s_cmp_gt_i32 s6, 3
	s_cbranch_scc0 .LBB9_1907
; %bb.1906:
	v_trunc_f64_e32 v[2:3], v[0:1]
	s_movk_i32 s0, 0xffe0
	v_ldexp_f64 v[18:19], v[2:3], s0
	v_floor_f64_e32 v[18:19], v[18:19]
	v_fmac_f64_e32 v[2:3], 0xc1f00000, v[18:19]
	v_cvt_i32_f64_e32 v21, v[18:19]
	v_cvt_u32_f64_e32 v20, v[2:3]
	global_store_dwordx2 v[16:17], v[20:21], off
	s_mov_b64 s[0:1], 0
.LBB9_1907:
	s_andn2_b64 vcc, exec, s[0:1]
	s_cbranch_vccnz .LBB9_1909
; %bb.1908:
	v_cvt_i32_f64_e32 v2, v[0:1]
	global_store_dword v[16:17], v2, off
.LBB9_1909:
	s_mov_b64 s[0:1], 0
.LBB9_1910:
	s_andn2_b64 vcc, exec, s[0:1]
	s_cbranch_vccnz .LBB9_1912
; %bb.1911:
	v_cvt_i32_f64_e32 v2, v[0:1]
	global_store_short v[16:17], v2, off
.LBB9_1912:
	s_mov_b64 s[0:1], 0
.LBB9_1913:
	s_andn2_b64 vcc, exec, s[0:1]
	s_cbranch_vccnz .LBB9_1918
; %bb.1914:
	s_cmp_gt_i32 s6, 0
	s_mov_b64 s[0:1], -1
	s_cbranch_scc0 .LBB9_1916
; %bb.1915:
	v_cvt_i32_f64_e32 v2, v[0:1]
	global_store_byte v[16:17], v2, off
	s_mov_b64 s[0:1], 0
.LBB9_1916:
	s_andn2_b64 vcc, exec, s[0:1]
	s_cbranch_vccnz .LBB9_1918
; %bb.1917:
	v_trunc_f64_e32 v[0:1], v[0:1]
	s_movk_i32 s0, 0xffe0
	v_ldexp_f64 v[2:3], v[0:1], s0
	v_floor_f64_e32 v[2:3], v[2:3]
	v_fmac_f64_e32 v[0:1], 0xc1f00000, v[2:3]
	v_cvt_u32_f64_e32 v0, v[0:1]
	global_store_byte v[16:17], v0, off
.LBB9_1918:
	s_mov_b64 s[8:9], -1
.LBB9_1919:
	s_andn2_b64 vcc, exec, s[8:9]
	s_cbranch_vccnz .LBB9_2234
; %bb.1920:
	s_lshr_b32 s0, s16, 8
	s_and_b32 s14, s0, 0xff
	v_mov_b32_e32 v7, 0
	s_cmp_lt_i32 s14, 11
	v_lshl_add_u64 v[0:1], s[4:5], 0, v[6:7]
	s_cbranch_scc1 .LBB9_1998
; %bb.1921:
	s_and_b32 s15, 0xffff, s14
	s_mov_b64 s[10:11], -1
	s_mov_b64 s[6:7], 0
	s_cmp_gt_i32 s15, 25
	s_mov_b64 s[8:9], 0
	s_mov_b64 s[0:1], 0
	s_cbranch_scc0 .LBB9_1954
; %bb.1922:
	s_cmp_gt_i32 s15, 28
	s_cbranch_scc0 .LBB9_1937
; %bb.1923:
	s_cmp_gt_i32 s15, 43
	;; [unrolled: 3-line block ×3, first 2 shown]
	s_cbranch_scc0 .LBB9_1927
; %bb.1925:
	s_mov_b64 s[0:1], -1
	s_mov_b64 s[10:11], 0
	s_cmp_eq_u32 s15, 46
	s_cbranch_scc0 .LBB9_1927
; %bb.1926:
	v_cvt_f32_f64_e32 v2, v[4:5]
	v_bfe_u32 v3, v2, 16, 1
	s_movk_i32 s0, 0x7fff
	v_add3_u32 v3, v2, v3, s0
	v_cmp_o_f32_e32 vcc, v2, v2
	v_mov_b32_e32 v2, 0x7fc0
	s_mov_b64 s[0:1], 0
	v_cndmask_b32_sdwa v2, v2, v3, vcc dst_sel:DWORD dst_unused:UNUSED_PAD src0_sel:DWORD src1_sel:WORD_1
	global_store_dword v[0:1], v2, off
	s_mov_b64 s[8:9], -1
.LBB9_1927:
	s_and_b64 vcc, exec, s[10:11]
	s_cbranch_vccz .LBB9_1932
; %bb.1928:
	s_cmp_eq_u32 s15, 44
	s_mov_b64 s[0:1], -1
	s_cbranch_scc0 .LBB9_1932
; %bb.1929:
	v_cvt_f32_f64_e32 v2, v[4:5]
	v_bfe_u32 v3, v2, 23, 8
	s_movk_i32 s0, 0xff
	v_cmp_ne_u32_e32 vcc, s0, v3
	v_mov_b32_e32 v6, 0xff
	s_and_saveexec_b64 s[8:9], vcc
; %bb.1930:
	s_mov_b32 s0, 0x3fffff
	v_lshrrev_b32_e32 v6, 23, v2
	v_and_b32_e32 v7, 0x400000, v2
	v_and_or_b32 v2, v2, s0, v3
	v_cmp_ne_u32_e32 vcc, 0, v7
	v_cmp_ne_u32_e64 s[0:1], 0, v2
	s_and_b64 s[0:1], vcc, s[0:1]
	s_nop 0
	v_cndmask_b32_e64 v2, 0, 1, s[0:1]
	v_add_u32_e32 v6, v6, v2
; %bb.1931:
	s_or_b64 exec, exec, s[8:9]
	s_mov_b64 s[0:1], 0
	s_mov_b64 s[8:9], -1
	global_store_byte v[0:1], v6, off
.LBB9_1932:
	s_mov_b64 s[10:11], 0
.LBB9_1933:
	s_and_b64 vcc, exec, s[10:11]
	s_cbranch_vccz .LBB9_1936
; %bb.1934:
	s_cmp_eq_u32 s15, 29
	s_mov_b64 s[0:1], -1
	s_cbranch_scc0 .LBB9_1936
; %bb.1935:
	v_trunc_f64_e32 v[2:3], v[4:5]
	s_movk_i32 s0, 0xffe0
	v_ldexp_f64 v[6:7], v[2:3], s0
	v_floor_f64_e32 v[6:7], v[6:7]
	v_fmac_f64_e32 v[2:3], 0xc1f00000, v[6:7]
	v_cvt_u32_f64_e32 v17, v[6:7]
	v_cvt_u32_f64_e32 v16, v[2:3]
	global_store_dwordx2 v[0:1], v[16:17], off
	s_mov_b64 s[0:1], 0
	s_mov_b64 s[8:9], -1
.LBB9_1936:
	s_mov_b64 s[10:11], 0
.LBB9_1937:
	s_and_b64 vcc, exec, s[10:11]
	s_cbranch_vccz .LBB9_1953
; %bb.1938:
	s_cmp_lt_i32 s15, 27
	s_mov_b64 s[8:9], -1
	s_cbranch_scc1 .LBB9_1944
; %bb.1939:
	s_cmp_gt_i32 s15, 27
	s_cbranch_scc0 .LBB9_1941
; %bb.1940:
	v_cvt_u32_f64_e32 v2, v[4:5]
	s_mov_b64 s[8:9], 0
	global_store_dword v[0:1], v2, off
.LBB9_1941:
	s_andn2_b64 vcc, exec, s[8:9]
	s_cbranch_vccnz .LBB9_1943
; %bb.1942:
	v_cvt_u32_f64_e32 v2, v[4:5]
	global_store_short v[0:1], v2, off
.LBB9_1943:
	s_mov_b64 s[8:9], 0
.LBB9_1944:
	s_andn2_b64 vcc, exec, s[8:9]
	s_cbranch_vccnz .LBB9_1952
; %bb.1945:
	v_cvt_f32_f64_e32 v2, v[4:5]
	v_and_b32_e32 v3, 0x7fffffff, v2
	s_mov_b32 s8, 0x43800000
	v_cmp_gt_u32_e32 vcc, s8, v3
	v_mov_b32_e32 v6, 0x80
	s_and_saveexec_b64 s[8:9], vcc
	s_cbranch_execz .LBB9_1951
; %bb.1946:
	s_mov_b32 s10, 0x3bffffff
	v_cmp_lt_u32_e32 vcc, s10, v3
	s_mov_b64 s[10:11], 0
                                        ; implicit-def: $vgpr3
	s_and_saveexec_b64 s[12:13], vcc
	s_xor_b64 s[12:13], exec, s[12:13]
	s_cbranch_execz .LBB9_2242
; %bb.1947:
	v_bfe_u32 v3, v2, 20, 1
	s_mov_b32 s16, 0x487ffff
	v_add3_u32 v3, v2, v3, s16
	s_mov_b64 s[10:11], exec
	v_lshrrev_b32_e32 v3, 20, v3
	s_andn2_saveexec_b64 s[12:13], s[12:13]
	s_cbranch_execnz .LBB9_2243
.LBB9_1948:
	s_or_b64 exec, exec, s[12:13]
	v_mov_b32_e32 v6, 0
	s_and_saveexec_b64 s[12:13], s[10:11]
.LBB9_1949:
	v_lshrrev_b32_e32 v2, 24, v2
	s_movk_i32 s10, 0x80
	v_and_or_b32 v6, v2, s10, v3
.LBB9_1950:
	s_or_b64 exec, exec, s[12:13]
.LBB9_1951:
	s_or_b64 exec, exec, s[8:9]
	global_store_byte v[0:1], v6, off
.LBB9_1952:
	s_mov_b64 s[8:9], -1
.LBB9_1953:
	s_mov_b64 s[10:11], 0
.LBB9_1954:
	s_and_b64 vcc, exec, s[10:11]
	s_cbranch_vccz .LBB9_1994
; %bb.1955:
	s_cmp_gt_i32 s15, 22
	s_mov_b64 s[6:7], -1
	s_cbranch_scc0 .LBB9_1987
; %bb.1956:
	s_cmp_lt_i32 s15, 24
	s_cbranch_scc1 .LBB9_1976
; %bb.1957:
	s_cmp_gt_i32 s15, 24
	s_cbranch_scc0 .LBB9_1965
; %bb.1958:
	v_cvt_f32_f64_e32 v2, v[4:5]
	v_and_b32_e32 v3, 0x7fffffff, v2
	s_mov_b32 s6, 0x47800000
	v_cmp_gt_u32_e32 vcc, s6, v3
	v_mov_b32_e32 v6, 0x80
	s_and_saveexec_b64 s[6:7], vcc
	s_cbranch_execz .LBB9_1964
; %bb.1959:
	s_mov_b32 s8, 0x37ffffff
	v_cmp_lt_u32_e32 vcc, s8, v3
	s_mov_b64 s[8:9], 0
                                        ; implicit-def: $vgpr3
	s_and_saveexec_b64 s[10:11], vcc
	s_xor_b64 s[10:11], exec, s[10:11]
	s_cbranch_execz .LBB9_2245
; %bb.1960:
	v_bfe_u32 v3, v2, 21, 1
	s_mov_b32 s12, 0x88fffff
	v_add3_u32 v3, v2, v3, s12
	s_mov_b64 s[8:9], exec
	v_lshrrev_b32_e32 v3, 21, v3
	s_andn2_saveexec_b64 s[10:11], s[10:11]
	s_cbranch_execnz .LBB9_2246
.LBB9_1961:
	s_or_b64 exec, exec, s[10:11]
	v_mov_b32_e32 v6, 0
	s_and_saveexec_b64 s[10:11], s[8:9]
.LBB9_1962:
	v_lshrrev_b32_e32 v2, 24, v2
	s_movk_i32 s8, 0x80
	v_and_or_b32 v6, v2, s8, v3
.LBB9_1963:
	s_or_b64 exec, exec, s[10:11]
.LBB9_1964:
	s_or_b64 exec, exec, s[6:7]
	s_mov_b64 s[6:7], 0
	global_store_byte v[0:1], v6, off
.LBB9_1965:
	s_and_b64 vcc, exec, s[6:7]
	s_cbranch_vccz .LBB9_1975
; %bb.1966:
	v_cvt_f32_f64_e32 v2, v[4:5]
	v_and_b32_e32 v6, 0x7fffffff, v2
	s_mov_b32 s6, 0x43f00000
	v_cmp_gt_u32_e32 vcc, s6, v6
                                        ; implicit-def: $vgpr3
	s_and_saveexec_b64 s[6:7], vcc
	s_xor_b64 s[6:7], exec, s[6:7]
	s_cbranch_execz .LBB9_1972
; %bb.1967:
	s_mov_b32 s8, 0x3c7fffff
	v_cmp_lt_u32_e32 vcc, s8, v6
                                        ; implicit-def: $vgpr3
	s_and_saveexec_b64 s[8:9], vcc
	s_xor_b64 s[8:9], exec, s[8:9]
; %bb.1968:
	v_bfe_u32 v3, v2, 20, 1
	s_mov_b32 s10, 0x407ffff
	v_add3_u32 v3, v2, v3, s10
	v_lshrrev_b32_e32 v6, 20, v3
	v_and_b32_e32 v3, 0xff00000, v3
	s_mov_b32 s10, 0x7f00000
	v_mov_b32_e32 v7, 0x7e
	v_cmp_ne_u32_e32 vcc, s10, v3
	s_nop 1
	v_cndmask_b32_e32 v3, v7, v6, vcc
; %bb.1969:
	s_andn2_saveexec_b64 s[8:9], s[8:9]
; %bb.1970:
	s_mov_b32 s10, 0x46800000
	v_add_f32_e64 v3, |v2|, s10
; %bb.1971:
	s_or_b64 exec, exec, s[8:9]
                                        ; implicit-def: $vgpr6
.LBB9_1972:
	s_andn2_saveexec_b64 s[6:7], s[6:7]
; %bb.1973:
	s_mov_b32 s8, 0x7f800000
	v_mov_b32_e32 v3, 0x7e
	v_mov_b32_e32 v7, 0x7f
	v_cmp_lt_u32_e32 vcc, s8, v6
	s_nop 1
	v_cndmask_b32_e32 v3, v3, v7, vcc
; %bb.1974:
	s_or_b64 exec, exec, s[6:7]
	v_lshrrev_b32_e32 v2, 24, v2
	s_movk_i32 s6, 0x80
	v_and_or_b32 v2, v2, s6, v3
	global_store_byte v[0:1], v2, off
.LBB9_1975:
	s_mov_b64 s[6:7], 0
.LBB9_1976:
	s_andn2_b64 vcc, exec, s[6:7]
	s_cbranch_vccnz .LBB9_1986
; %bb.1977:
	v_cvt_f32_f64_e32 v2, v[4:5]
	v_and_b32_e32 v6, 0x7fffffff, v2
	s_mov_b32 s6, 0x47800000
	v_cmp_gt_u32_e32 vcc, s6, v6
                                        ; implicit-def: $vgpr3
	s_and_saveexec_b64 s[6:7], vcc
	s_xor_b64 s[6:7], exec, s[6:7]
	s_cbranch_execz .LBB9_1983
; %bb.1978:
	s_mov_b32 s8, 0x387fffff
	v_cmp_lt_u32_e32 vcc, s8, v6
                                        ; implicit-def: $vgpr3
	s_and_saveexec_b64 s[8:9], vcc
	s_xor_b64 s[8:9], exec, s[8:9]
; %bb.1979:
	v_bfe_u32 v3, v2, 21, 1
	s_mov_b32 s10, 0x80fffff
	v_add3_u32 v3, v2, v3, s10
	v_lshrrev_b32_e32 v3, 21, v3
; %bb.1980:
	s_andn2_saveexec_b64 s[8:9], s[8:9]
; %bb.1981:
	s_mov_b32 s10, 0x43000000
	v_add_f32_e64 v3, |v2|, s10
; %bb.1982:
	s_or_b64 exec, exec, s[8:9]
                                        ; implicit-def: $vgpr6
.LBB9_1983:
	s_andn2_saveexec_b64 s[6:7], s[6:7]
; %bb.1984:
	s_mov_b32 s8, 0x7f800000
	v_mov_b32_e32 v3, 0x7c
	v_mov_b32_e32 v7, 0x7f
	v_cmp_lt_u32_e32 vcc, s8, v6
	s_nop 1
	v_cndmask_b32_e32 v3, v3, v7, vcc
; %bb.1985:
	s_or_b64 exec, exec, s[6:7]
	v_lshrrev_b32_e32 v2, 24, v2
	s_movk_i32 s6, 0x80
	v_and_or_b32 v2, v2, s6, v3
	global_store_byte v[0:1], v2, off
.LBB9_1986:
	s_mov_b64 s[6:7], 0
	s_mov_b64 s[8:9], -1
.LBB9_1987:
	s_andn2_b64 vcc, exec, s[6:7]
	s_mov_b64 s[6:7], 0
	s_cbranch_vccnz .LBB9_1994
; %bb.1988:
	s_cmp_gt_i32 s15, 14
	s_mov_b64 s[10:11], -1
	s_cbranch_scc0 .LBB9_1992
; %bb.1989:
	s_cmp_eq_u32 s15, 15
	s_mov_b64 s[0:1], -1
	s_cbranch_scc0 .LBB9_1991
; %bb.1990:
	v_cvt_f32_f64_e32 v2, v[4:5]
	v_bfe_u32 v3, v2, 16, 1
	s_movk_i32 s0, 0x7fff
	v_add3_u32 v3, v2, v3, s0
	v_cmp_o_f32_e32 vcc, v2, v2
	v_mov_b32_e32 v2, 0x7fc0
	s_mov_b64 s[0:1], 0
	v_cndmask_b32_sdwa v2, v2, v3, vcc dst_sel:DWORD dst_unused:UNUSED_PAD src0_sel:DWORD src1_sel:WORD_1
	global_store_short v[0:1], v2, off
	s_mov_b64 s[8:9], -1
.LBB9_1991:
	s_mov_b64 s[10:11], 0
.LBB9_1992:
	s_and_b64 vcc, exec, s[10:11]
	s_cbranch_vccz .LBB9_1994
; %bb.1993:
	s_cmp_lg_u32 s15, 11
	s_mov_b64 s[6:7], -1
	s_cselect_b64 s[0:1], -1, 0
.LBB9_1994:
	s_and_b64 vcc, exec, s[0:1]
	s_cbranch_vccnz .LBB9_2244
; %bb.1995:
	s_andn2_b64 vcc, exec, s[6:7]
	s_cbranch_vccnz .LBB9_1997
.LBB9_1996:
	v_cmp_neq_f64_e32 vcc, 0, v[4:5]
	s_mov_b64 s[8:9], -1
	s_nop 0
	v_cndmask_b32_e64 v2, 0, 1, vcc
	global_store_byte v[0:1], v2, off
.LBB9_1997:
	s_mov_b64 s[0:1], 0
	s_branch .LBB9_1999
.LBB9_1998:
	s_mov_b64 s[0:1], -1
	s_mov_b64 s[8:9], 0
.LBB9_1999:
	s_and_b64 vcc, exec, s[0:1]
	s_cbranch_vccz .LBB9_2038
; %bb.2000:
	s_and_b32 s6, 0xffff, s14
	s_cmp_lt_i32 s6, 5
	s_mov_b64 s[0:1], -1
	s_cbranch_scc1 .LBB9_2021
; %bb.2001:
	s_cmp_lt_i32 s6, 8
	s_cbranch_scc1 .LBB9_2011
; %bb.2002:
	s_cmp_lt_i32 s6, 9
	s_cbranch_scc1 .LBB9_2008
; %bb.2003:
	s_cmp_gt_i32 s6, 9
	s_cbranch_scc0 .LBB9_2005
; %bb.2004:
	v_mov_b32_e32 v6, 0
	v_mov_b32_e32 v7, v6
	global_store_dwordx4 v[0:1], v[4:7], off
	s_mov_b64 s[0:1], 0
.LBB9_2005:
	s_andn2_b64 vcc, exec, s[0:1]
	s_cbranch_vccnz .LBB9_2007
; %bb.2006:
	v_cvt_f32_f64_e32 v2, v[4:5]
	v_mov_b32_e32 v3, 0
	global_store_dwordx2 v[0:1], v[2:3], off
.LBB9_2007:
	s_mov_b64 s[0:1], 0
.LBB9_2008:
	s_andn2_b64 vcc, exec, s[0:1]
	s_cbranch_vccnz .LBB9_2010
; %bb.2009:
	s_movk_i32 s0, 0x1ff
	v_and_or_b32 v2, v5, s0, v4
	v_cmp_ne_u32_e32 vcc, 0, v2
	v_lshrrev_b32_e32 v3, 8, v5
	s_movk_i32 s0, 0xffe
	v_cndmask_b32_e64 v2, 0, 1, vcc
	v_bfe_u32 v6, v5, 20, 11
	v_and_or_b32 v2, v3, s0, v2
	v_sub_u32_e32 v7, 0x3f1, v6
	v_or_b32_e32 v3, 0x1000, v2
	v_med3_i32 v7, v7, 0, 13
	v_lshrrev_b32_e32 v11, v7, v3
	v_lshlrev_b32_e32 v7, v7, v11
	v_cmp_ne_u32_e32 vcc, v7, v3
	v_add_u32_e32 v6, 0xfffffc10, v6
	v_lshl_or_b32 v7, v6, 12, v2
	v_cndmask_b32_e64 v3, 0, 1, vcc
	v_or_b32_e32 v3, v11, v3
	v_cmp_gt_i32_e32 vcc, 1, v6
	s_movk_i32 s0, 0x40f
	s_nop 0
	v_cndmask_b32_e32 v3, v7, v3, vcc
	v_and_b32_e32 v7, 7, v3
	v_cmp_lt_i32_e32 vcc, 5, v7
	v_lshrrev_b32_e32 v3, 2, v3
	s_nop 0
	v_cndmask_b32_e64 v11, 0, 1, vcc
	v_cmp_eq_u32_e32 vcc, 3, v7
	s_nop 1
	v_cndmask_b32_e64 v7, 0, 1, vcc
	v_or_b32_e32 v7, v7, v11
	v_add_u32_e32 v3, v3, v7
	v_mov_b32_e32 v7, 0x7c00
	v_cmp_gt_i32_e32 vcc, 31, v6
	v_mov_b32_e32 v11, 0x7e00
	s_nop 0
	v_cndmask_b32_e32 v3, v7, v3, vcc
	v_cmp_ne_u32_e32 vcc, 0, v2
	s_nop 1
	v_cndmask_b32_e32 v2, v7, v11, vcc
	v_cmp_eq_u32_e32 vcc, s0, v6
	s_mov_b32 s0, 0x8000
	s_nop 0
	v_cndmask_b32_e32 v2, v3, v2, vcc
	v_and_b32_sdwa v3, v5, s0 dst_sel:DWORD dst_unused:UNUSED_PAD src0_sel:WORD_1 src1_sel:DWORD
	s_mov_b32 s0, 0xffff
	v_bitop3_b32 v2, v3, s0, v2 bitop3:0xc8
	global_store_dword v[0:1], v2, off
.LBB9_2010:
	s_mov_b64 s[0:1], 0
.LBB9_2011:
	s_andn2_b64 vcc, exec, s[0:1]
	s_cbranch_vccnz .LBB9_2020
; %bb.2012:
	s_cmp_lt_i32 s6, 6
	s_mov_b64 s[0:1], -1
	s_cbranch_scc1 .LBB9_2018
; %bb.2013:
	s_cmp_gt_i32 s6, 6
	s_cbranch_scc0 .LBB9_2015
; %bb.2014:
	global_store_dwordx2 v[0:1], v[4:5], off
	s_mov_b64 s[0:1], 0
.LBB9_2015:
	s_andn2_b64 vcc, exec, s[0:1]
	s_cbranch_vccnz .LBB9_2017
; %bb.2016:
	v_cvt_f32_f64_e32 v2, v[4:5]
	global_store_dword v[0:1], v2, off
.LBB9_2017:
	s_mov_b64 s[0:1], 0
.LBB9_2018:
	s_andn2_b64 vcc, exec, s[0:1]
	s_cbranch_vccnz .LBB9_2020
; %bb.2019:
	s_movk_i32 s0, 0x1ff
	v_and_or_b32 v2, v5, s0, v4
	v_cmp_ne_u32_e32 vcc, 0, v2
	v_lshrrev_b32_e32 v3, 8, v5
	s_movk_i32 s0, 0xffe
	v_cndmask_b32_e64 v2, 0, 1, vcc
	v_bfe_u32 v6, v5, 20, 11
	v_and_or_b32 v2, v3, s0, v2
	v_sub_u32_e32 v7, 0x3f1, v6
	v_or_b32_e32 v3, 0x1000, v2
	v_med3_i32 v7, v7, 0, 13
	v_lshrrev_b32_e32 v11, v7, v3
	v_lshlrev_b32_e32 v7, v7, v11
	v_cmp_ne_u32_e32 vcc, v7, v3
	v_add_u32_e32 v6, 0xfffffc10, v6
	v_lshl_or_b32 v7, v6, 12, v2
	v_cndmask_b32_e64 v3, 0, 1, vcc
	v_or_b32_e32 v3, v11, v3
	v_cmp_gt_i32_e32 vcc, 1, v6
	s_movk_i32 s0, 0x40f
	s_nop 0
	v_cndmask_b32_e32 v3, v7, v3, vcc
	v_and_b32_e32 v7, 7, v3
	v_cmp_lt_i32_e32 vcc, 5, v7
	v_lshrrev_b32_e32 v3, 2, v3
	s_nop 0
	v_cndmask_b32_e64 v11, 0, 1, vcc
	v_cmp_eq_u32_e32 vcc, 3, v7
	s_nop 1
	v_cndmask_b32_e64 v7, 0, 1, vcc
	v_or_b32_e32 v7, v7, v11
	v_add_u32_e32 v3, v3, v7
	v_mov_b32_e32 v7, 0x7c00
	v_cmp_gt_i32_e32 vcc, 31, v6
	v_mov_b32_e32 v11, 0x7e00
	s_nop 0
	v_cndmask_b32_e32 v3, v7, v3, vcc
	v_cmp_ne_u32_e32 vcc, 0, v2
	s_nop 1
	v_cndmask_b32_e32 v2, v7, v11, vcc
	v_cmp_eq_u32_e32 vcc, s0, v6
	s_mov_b32 s0, 0x8000
	s_nop 0
	v_cndmask_b32_e32 v2, v3, v2, vcc
	v_lshrrev_b32_e32 v3, 16, v5
	v_and_or_b32 v2, v3, s0, v2
	global_store_short v[0:1], v2, off
.LBB9_2020:
	s_mov_b64 s[0:1], 0
.LBB9_2021:
	s_andn2_b64 vcc, exec, s[0:1]
	s_cbranch_vccnz .LBB9_2037
; %bb.2022:
	s_cmp_lt_i32 s6, 2
	s_mov_b64 s[0:1], -1
	s_cbranch_scc1 .LBB9_2032
; %bb.2023:
	s_cmp_lt_i32 s6, 3
	s_cbranch_scc1 .LBB9_2029
; %bb.2024:
	s_cmp_gt_i32 s6, 3
	s_cbranch_scc0 .LBB9_2026
; %bb.2025:
	v_trunc_f64_e32 v[2:3], v[4:5]
	s_movk_i32 s0, 0xffe0
	v_ldexp_f64 v[6:7], v[2:3], s0
	v_floor_f64_e32 v[6:7], v[6:7]
	v_fmac_f64_e32 v[2:3], 0xc1f00000, v[6:7]
	v_cvt_i32_f64_e32 v17, v[6:7]
	v_cvt_u32_f64_e32 v16, v[2:3]
	global_store_dwordx2 v[0:1], v[16:17], off
	s_mov_b64 s[0:1], 0
.LBB9_2026:
	s_andn2_b64 vcc, exec, s[0:1]
	s_cbranch_vccnz .LBB9_2028
; %bb.2027:
	v_cvt_i32_f64_e32 v2, v[4:5]
	global_store_dword v[0:1], v2, off
.LBB9_2028:
	s_mov_b64 s[0:1], 0
.LBB9_2029:
	s_andn2_b64 vcc, exec, s[0:1]
	s_cbranch_vccnz .LBB9_2031
; %bb.2030:
	v_cvt_i32_f64_e32 v2, v[4:5]
	global_store_short v[0:1], v2, off
.LBB9_2031:
	s_mov_b64 s[0:1], 0
.LBB9_2032:
	s_andn2_b64 vcc, exec, s[0:1]
	s_cbranch_vccnz .LBB9_2037
; %bb.2033:
	s_cmp_gt_i32 s6, 0
	s_mov_b64 s[0:1], -1
	s_cbranch_scc0 .LBB9_2035
; %bb.2034:
	v_cvt_i32_f64_e32 v2, v[4:5]
	global_store_byte v[0:1], v2, off
	s_mov_b64 s[0:1], 0
.LBB9_2035:
	s_andn2_b64 vcc, exec, s[0:1]
	s_cbranch_vccnz .LBB9_2037
; %bb.2036:
	v_trunc_f64_e32 v[2:3], v[4:5]
	s_movk_i32 s0, 0xffe0
	v_ldexp_f64 v[4:5], v[2:3], s0
	v_floor_f64_e32 v[4:5], v[4:5]
	v_fmac_f64_e32 v[2:3], 0xc1f00000, v[4:5]
	v_cvt_u32_f64_e32 v2, v[2:3]
	global_store_byte v[0:1], v2, off
.LBB9_2037:
	s_mov_b64 s[8:9], -1
.LBB9_2038:
	s_andn2_b64 vcc, exec, s[8:9]
	s_cbranch_vccnz .LBB9_2234
; %bb.2039:
	v_mov_b32_e32 v11, 0
	s_cmp_lt_i32 s14, 11
	v_lshl_add_u64 v[0:1], s[4:5], 0, v[10:11]
	s_cbranch_scc1 .LBB9_2117
; %bb.2040:
	s_and_b32 s15, 0xffff, s14
	s_mov_b64 s[10:11], -1
	s_mov_b64 s[6:7], 0
	s_cmp_gt_i32 s15, 25
	s_mov_b64 s[8:9], 0
	s_mov_b64 s[0:1], 0
	s_cbranch_scc0 .LBB9_2073
; %bb.2041:
	s_cmp_gt_i32 s15, 28
	s_cbranch_scc0 .LBB9_2056
; %bb.2042:
	s_cmp_gt_i32 s15, 43
	;; [unrolled: 3-line block ×3, first 2 shown]
	s_cbranch_scc0 .LBB9_2046
; %bb.2044:
	s_mov_b64 s[0:1], -1
	s_mov_b64 s[10:11], 0
	s_cmp_eq_u32 s15, 46
	s_cbranch_scc0 .LBB9_2046
; %bb.2045:
	v_cvt_f32_f64_e32 v2, v[8:9]
	v_bfe_u32 v3, v2, 16, 1
	s_movk_i32 s0, 0x7fff
	v_add3_u32 v3, v2, v3, s0
	v_cmp_o_f32_e32 vcc, v2, v2
	v_mov_b32_e32 v2, 0x7fc0
	s_mov_b64 s[0:1], 0
	v_cndmask_b32_sdwa v2, v2, v3, vcc dst_sel:DWORD dst_unused:UNUSED_PAD src0_sel:DWORD src1_sel:WORD_1
	global_store_dword v[0:1], v2, off
	s_mov_b64 s[8:9], -1
.LBB9_2046:
	s_and_b64 vcc, exec, s[10:11]
	s_cbranch_vccz .LBB9_2051
; %bb.2047:
	s_cmp_eq_u32 s15, 44
	s_mov_b64 s[0:1], -1
	s_cbranch_scc0 .LBB9_2051
; %bb.2048:
	v_cvt_f32_f64_e32 v2, v[8:9]
	v_bfe_u32 v3, v2, 23, 8
	s_movk_i32 s0, 0xff
	v_cmp_ne_u32_e32 vcc, s0, v3
	v_mov_b32_e32 v4, 0xff
	s_and_saveexec_b64 s[8:9], vcc
; %bb.2049:
	s_mov_b32 s0, 0x3fffff
	v_lshrrev_b32_e32 v4, 23, v2
	v_and_b32_e32 v5, 0x400000, v2
	v_and_or_b32 v2, v2, s0, v3
	v_cmp_ne_u32_e32 vcc, 0, v5
	v_cmp_ne_u32_e64 s[0:1], 0, v2
	s_and_b64 s[0:1], vcc, s[0:1]
	s_nop 0
	v_cndmask_b32_e64 v2, 0, 1, s[0:1]
	v_add_u32_e32 v4, v4, v2
; %bb.2050:
	s_or_b64 exec, exec, s[8:9]
	s_mov_b64 s[0:1], 0
	s_mov_b64 s[8:9], -1
	global_store_byte v[0:1], v4, off
.LBB9_2051:
	s_mov_b64 s[10:11], 0
.LBB9_2052:
	s_and_b64 vcc, exec, s[10:11]
	s_cbranch_vccz .LBB9_2055
; %bb.2053:
	s_cmp_eq_u32 s15, 29
	s_mov_b64 s[0:1], -1
	s_cbranch_scc0 .LBB9_2055
; %bb.2054:
	v_trunc_f64_e32 v[2:3], v[8:9]
	s_movk_i32 s0, 0xffe0
	v_ldexp_f64 v[4:5], v[2:3], s0
	v_floor_f64_e32 v[4:5], v[4:5]
	v_fmac_f64_e32 v[2:3], 0xc1f00000, v[4:5]
	v_cvt_u32_f64_e32 v7, v[4:5]
	v_cvt_u32_f64_e32 v6, v[2:3]
	global_store_dwordx2 v[0:1], v[6:7], off
	s_mov_b64 s[0:1], 0
	s_mov_b64 s[8:9], -1
.LBB9_2055:
	s_mov_b64 s[10:11], 0
.LBB9_2056:
	s_and_b64 vcc, exec, s[10:11]
	s_cbranch_vccz .LBB9_2072
; %bb.2057:
	s_cmp_lt_i32 s15, 27
	s_mov_b64 s[8:9], -1
	s_cbranch_scc1 .LBB9_2063
; %bb.2058:
	s_cmp_gt_i32 s15, 27
	v_cvt_u32_f64_e32 v2, v[8:9]
	s_cbranch_scc0 .LBB9_2060
; %bb.2059:
	s_mov_b64 s[8:9], 0
	global_store_dword v[0:1], v2, off
.LBB9_2060:
	s_andn2_b64 vcc, exec, s[8:9]
	s_cbranch_vccnz .LBB9_2062
; %bb.2061:
	global_store_short v[0:1], v2, off
.LBB9_2062:
	s_mov_b64 s[8:9], 0
.LBB9_2063:
	s_andn2_b64 vcc, exec, s[8:9]
	s_cbranch_vccnz .LBB9_2071
; %bb.2064:
	v_cvt_f32_f64_e32 v2, v[8:9]
	v_and_b32_e32 v3, 0x7fffffff, v2
	s_mov_b32 s8, 0x43800000
	v_cmp_gt_u32_e32 vcc, s8, v3
	v_mov_b32_e32 v4, 0x80
	s_and_saveexec_b64 s[8:9], vcc
	s_cbranch_execz .LBB9_2070
; %bb.2065:
	s_mov_b32 s10, 0x3bffffff
	v_cmp_lt_u32_e32 vcc, s10, v3
	s_mov_b64 s[10:11], 0
                                        ; implicit-def: $vgpr3
	s_and_saveexec_b64 s[12:13], vcc
	s_xor_b64 s[12:13], exec, s[12:13]
	s_cbranch_execz .LBB9_2247
; %bb.2066:
	v_bfe_u32 v3, v2, 20, 1
	s_mov_b32 s16, 0x487ffff
	v_add3_u32 v3, v2, v3, s16
	s_mov_b64 s[10:11], exec
	v_lshrrev_b32_e32 v3, 20, v3
	s_andn2_saveexec_b64 s[12:13], s[12:13]
	s_cbranch_execnz .LBB9_2248
.LBB9_2067:
	s_or_b64 exec, exec, s[12:13]
	v_mov_b32_e32 v4, 0
	s_and_saveexec_b64 s[12:13], s[10:11]
.LBB9_2068:
	v_lshrrev_b32_e32 v2, 24, v2
	s_movk_i32 s10, 0x80
	v_and_or_b32 v4, v2, s10, v3
.LBB9_2069:
	s_or_b64 exec, exec, s[12:13]
.LBB9_2070:
	s_or_b64 exec, exec, s[8:9]
	global_store_byte v[0:1], v4, off
.LBB9_2071:
	s_mov_b64 s[8:9], -1
.LBB9_2072:
	s_mov_b64 s[10:11], 0
.LBB9_2073:
	s_and_b64 vcc, exec, s[10:11]
	s_cbranch_vccz .LBB9_2113
; %bb.2074:
	s_cmp_gt_i32 s15, 22
	s_mov_b64 s[6:7], -1
	s_cbranch_scc0 .LBB9_2106
; %bb.2075:
	s_cmp_lt_i32 s15, 24
	s_cbranch_scc1 .LBB9_2095
; %bb.2076:
	s_cmp_gt_i32 s15, 24
	s_cbranch_scc0 .LBB9_2084
; %bb.2077:
	v_cvt_f32_f64_e32 v2, v[8:9]
	v_and_b32_e32 v3, 0x7fffffff, v2
	s_mov_b32 s6, 0x47800000
	v_cmp_gt_u32_e32 vcc, s6, v3
	v_mov_b32_e32 v4, 0x80
	s_and_saveexec_b64 s[6:7], vcc
	s_cbranch_execz .LBB9_2083
; %bb.2078:
	s_mov_b32 s8, 0x37ffffff
	v_cmp_lt_u32_e32 vcc, s8, v3
	s_mov_b64 s[8:9], 0
                                        ; implicit-def: $vgpr3
	s_and_saveexec_b64 s[10:11], vcc
	s_xor_b64 s[10:11], exec, s[10:11]
	s_cbranch_execz .LBB9_2250
; %bb.2079:
	v_bfe_u32 v3, v2, 21, 1
	s_mov_b32 s12, 0x88fffff
	v_add3_u32 v3, v2, v3, s12
	s_mov_b64 s[8:9], exec
	v_lshrrev_b32_e32 v3, 21, v3
	s_andn2_saveexec_b64 s[10:11], s[10:11]
	s_cbranch_execnz .LBB9_2251
.LBB9_2080:
	s_or_b64 exec, exec, s[10:11]
	v_mov_b32_e32 v4, 0
	s_and_saveexec_b64 s[10:11], s[8:9]
.LBB9_2081:
	v_lshrrev_b32_e32 v2, 24, v2
	s_movk_i32 s8, 0x80
	v_and_or_b32 v4, v2, s8, v3
.LBB9_2082:
	s_or_b64 exec, exec, s[10:11]
.LBB9_2083:
	s_or_b64 exec, exec, s[6:7]
	s_mov_b64 s[6:7], 0
	global_store_byte v[0:1], v4, off
.LBB9_2084:
	s_and_b64 vcc, exec, s[6:7]
	s_cbranch_vccz .LBB9_2094
; %bb.2085:
	v_cvt_f32_f64_e32 v2, v[8:9]
	v_and_b32_e32 v4, 0x7fffffff, v2
	s_mov_b32 s6, 0x43f00000
	v_cmp_gt_u32_e32 vcc, s6, v4
                                        ; implicit-def: $vgpr3
	s_and_saveexec_b64 s[6:7], vcc
	s_xor_b64 s[6:7], exec, s[6:7]
	s_cbranch_execz .LBB9_2091
; %bb.2086:
	s_mov_b32 s8, 0x3c7fffff
	v_cmp_lt_u32_e32 vcc, s8, v4
                                        ; implicit-def: $vgpr3
	s_and_saveexec_b64 s[8:9], vcc
	s_xor_b64 s[8:9], exec, s[8:9]
; %bb.2087:
	v_bfe_u32 v3, v2, 20, 1
	s_mov_b32 s10, 0x407ffff
	v_add3_u32 v3, v2, v3, s10
	v_lshrrev_b32_e32 v4, 20, v3
	v_and_b32_e32 v3, 0xff00000, v3
	s_mov_b32 s10, 0x7f00000
	v_mov_b32_e32 v5, 0x7e
	v_cmp_ne_u32_e32 vcc, s10, v3
	s_nop 1
	v_cndmask_b32_e32 v3, v5, v4, vcc
; %bb.2088:
	s_andn2_saveexec_b64 s[8:9], s[8:9]
; %bb.2089:
	s_mov_b32 s10, 0x46800000
	v_add_f32_e64 v3, |v2|, s10
; %bb.2090:
	s_or_b64 exec, exec, s[8:9]
                                        ; implicit-def: $vgpr4
.LBB9_2091:
	s_andn2_saveexec_b64 s[6:7], s[6:7]
; %bb.2092:
	s_mov_b32 s8, 0x7f800000
	v_mov_b32_e32 v3, 0x7e
	v_mov_b32_e32 v5, 0x7f
	v_cmp_lt_u32_e32 vcc, s8, v4
	s_nop 1
	v_cndmask_b32_e32 v3, v3, v5, vcc
; %bb.2093:
	s_or_b64 exec, exec, s[6:7]
	v_lshrrev_b32_e32 v2, 24, v2
	s_movk_i32 s6, 0x80
	v_and_or_b32 v2, v2, s6, v3
	global_store_byte v[0:1], v2, off
.LBB9_2094:
	s_mov_b64 s[6:7], 0
.LBB9_2095:
	s_andn2_b64 vcc, exec, s[6:7]
	s_cbranch_vccnz .LBB9_2105
; %bb.2096:
	v_cvt_f32_f64_e32 v2, v[8:9]
	v_and_b32_e32 v4, 0x7fffffff, v2
	s_mov_b32 s6, 0x47800000
	v_cmp_gt_u32_e32 vcc, s6, v4
                                        ; implicit-def: $vgpr3
	s_and_saveexec_b64 s[6:7], vcc
	s_xor_b64 s[6:7], exec, s[6:7]
	s_cbranch_execz .LBB9_2102
; %bb.2097:
	s_mov_b32 s8, 0x387fffff
	v_cmp_lt_u32_e32 vcc, s8, v4
                                        ; implicit-def: $vgpr3
	s_and_saveexec_b64 s[8:9], vcc
	s_xor_b64 s[8:9], exec, s[8:9]
; %bb.2098:
	v_bfe_u32 v3, v2, 21, 1
	s_mov_b32 s10, 0x80fffff
	v_add3_u32 v3, v2, v3, s10
	v_lshrrev_b32_e32 v3, 21, v3
; %bb.2099:
	s_andn2_saveexec_b64 s[8:9], s[8:9]
; %bb.2100:
	s_mov_b32 s10, 0x43000000
	v_add_f32_e64 v3, |v2|, s10
; %bb.2101:
	s_or_b64 exec, exec, s[8:9]
                                        ; implicit-def: $vgpr4
.LBB9_2102:
	s_andn2_saveexec_b64 s[6:7], s[6:7]
; %bb.2103:
	s_mov_b32 s8, 0x7f800000
	v_mov_b32_e32 v3, 0x7c
	v_mov_b32_e32 v5, 0x7f
	v_cmp_lt_u32_e32 vcc, s8, v4
	s_nop 1
	v_cndmask_b32_e32 v3, v3, v5, vcc
; %bb.2104:
	s_or_b64 exec, exec, s[6:7]
	v_lshrrev_b32_e32 v2, 24, v2
	s_movk_i32 s6, 0x80
	v_and_or_b32 v2, v2, s6, v3
	global_store_byte v[0:1], v2, off
.LBB9_2105:
	s_mov_b64 s[6:7], 0
	s_mov_b64 s[8:9], -1
.LBB9_2106:
	s_andn2_b64 vcc, exec, s[6:7]
	s_mov_b64 s[6:7], 0
	s_cbranch_vccnz .LBB9_2113
; %bb.2107:
	s_cmp_gt_i32 s15, 14
	s_mov_b64 s[10:11], -1
	s_cbranch_scc0 .LBB9_2111
; %bb.2108:
	s_cmp_eq_u32 s15, 15
	s_mov_b64 s[0:1], -1
	s_cbranch_scc0 .LBB9_2110
; %bb.2109:
	v_cvt_f32_f64_e32 v2, v[8:9]
	v_bfe_u32 v3, v2, 16, 1
	s_movk_i32 s0, 0x7fff
	v_add3_u32 v3, v2, v3, s0
	v_cmp_o_f32_e32 vcc, v2, v2
	v_mov_b32_e32 v2, 0x7fc0
	s_mov_b64 s[0:1], 0
	v_cndmask_b32_sdwa v2, v2, v3, vcc dst_sel:DWORD dst_unused:UNUSED_PAD src0_sel:DWORD src1_sel:WORD_1
	global_store_short v[0:1], v2, off
	s_mov_b64 s[8:9], -1
.LBB9_2110:
	s_mov_b64 s[10:11], 0
.LBB9_2111:
	s_and_b64 vcc, exec, s[10:11]
	s_cbranch_vccz .LBB9_2113
; %bb.2112:
	s_cmp_lg_u32 s15, 11
	s_mov_b64 s[6:7], -1
	s_cselect_b64 s[0:1], -1, 0
.LBB9_2113:
	s_and_b64 vcc, exec, s[0:1]
	s_cbranch_vccnz .LBB9_2249
; %bb.2114:
	s_andn2_b64 vcc, exec, s[6:7]
	s_cbranch_vccnz .LBB9_2116
.LBB9_2115:
	v_cmp_neq_f64_e32 vcc, 0, v[8:9]
	s_mov_b64 s[8:9], -1
	s_nop 0
	v_cndmask_b32_e64 v2, 0, 1, vcc
	global_store_byte v[0:1], v2, off
.LBB9_2116:
	s_mov_b64 s[0:1], 0
	s_branch .LBB9_2118
.LBB9_2117:
	s_mov_b64 s[0:1], -1
	s_mov_b64 s[8:9], 0
.LBB9_2118:
	s_and_b64 vcc, exec, s[0:1]
	s_cbranch_vccz .LBB9_2157
; %bb.2119:
	s_and_b32 s6, 0xffff, s14
	s_cmp_lt_i32 s6, 5
	s_mov_b64 s[0:1], -1
	s_cbranch_scc1 .LBB9_2140
; %bb.2120:
	s_cmp_lt_i32 s6, 8
	s_cbranch_scc1 .LBB9_2130
; %bb.2121:
	s_cmp_lt_i32 s6, 9
	s_cbranch_scc1 .LBB9_2127
; %bb.2122:
	s_cmp_gt_i32 s6, 9
	s_cbranch_scc0 .LBB9_2124
; %bb.2123:
	v_mov_b32_e32 v10, 0
	v_mov_b32_e32 v11, v10
	global_store_dwordx4 v[0:1], v[8:11], off
	s_mov_b64 s[0:1], 0
.LBB9_2124:
	s_andn2_b64 vcc, exec, s[0:1]
	s_cbranch_vccnz .LBB9_2126
; %bb.2125:
	v_cvt_f32_f64_e32 v2, v[8:9]
	v_mov_b32_e32 v3, 0
	global_store_dwordx2 v[0:1], v[2:3], off
.LBB9_2126:
	s_mov_b64 s[0:1], 0
.LBB9_2127:
	s_andn2_b64 vcc, exec, s[0:1]
	s_cbranch_vccnz .LBB9_2129
; %bb.2128:
	s_movk_i32 s0, 0x1ff
	v_and_or_b32 v2, v9, s0, v8
	v_cmp_ne_u32_e32 vcc, 0, v2
	v_lshrrev_b32_e32 v3, 8, v9
	s_movk_i32 s0, 0xffe
	v_cndmask_b32_e64 v2, 0, 1, vcc
	v_bfe_u32 v4, v9, 20, 11
	v_and_or_b32 v2, v3, s0, v2
	v_sub_u32_e32 v5, 0x3f1, v4
	v_or_b32_e32 v3, 0x1000, v2
	v_med3_i32 v5, v5, 0, 13
	v_lshrrev_b32_e32 v6, v5, v3
	v_lshlrev_b32_e32 v5, v5, v6
	v_cmp_ne_u32_e32 vcc, v5, v3
	v_add_u32_e32 v4, 0xfffffc10, v4
	v_lshl_or_b32 v5, v4, 12, v2
	v_cndmask_b32_e64 v3, 0, 1, vcc
	v_or_b32_e32 v3, v6, v3
	v_cmp_gt_i32_e32 vcc, 1, v4
	s_movk_i32 s0, 0x40f
	s_nop 0
	v_cndmask_b32_e32 v3, v5, v3, vcc
	v_and_b32_e32 v5, 7, v3
	v_cmp_lt_i32_e32 vcc, 5, v5
	v_lshrrev_b32_e32 v3, 2, v3
	s_nop 0
	v_cndmask_b32_e64 v6, 0, 1, vcc
	v_cmp_eq_u32_e32 vcc, 3, v5
	s_nop 1
	v_cndmask_b32_e64 v5, 0, 1, vcc
	v_or_b32_e32 v5, v5, v6
	v_add_u32_e32 v3, v3, v5
	v_mov_b32_e32 v5, 0x7c00
	v_cmp_gt_i32_e32 vcc, 31, v4
	v_mov_b32_e32 v6, 0x7e00
	s_nop 0
	v_cndmask_b32_e32 v3, v5, v3, vcc
	v_cmp_ne_u32_e32 vcc, 0, v2
	s_nop 1
	v_cndmask_b32_e32 v2, v5, v6, vcc
	v_cmp_eq_u32_e32 vcc, s0, v4
	s_mov_b32 s0, 0x8000
	s_nop 0
	v_cndmask_b32_e32 v2, v3, v2, vcc
	v_and_b32_sdwa v3, v9, s0 dst_sel:DWORD dst_unused:UNUSED_PAD src0_sel:WORD_1 src1_sel:DWORD
	s_mov_b32 s0, 0xffff
	v_bitop3_b32 v2, v3, s0, v2 bitop3:0xc8
	global_store_dword v[0:1], v2, off
.LBB9_2129:
	s_mov_b64 s[0:1], 0
.LBB9_2130:
	s_andn2_b64 vcc, exec, s[0:1]
	s_cbranch_vccnz .LBB9_2139
; %bb.2131:
	s_cmp_lt_i32 s6, 6
	s_mov_b64 s[0:1], -1
	s_cbranch_scc1 .LBB9_2137
; %bb.2132:
	s_cmp_gt_i32 s6, 6
	s_cbranch_scc0 .LBB9_2134
; %bb.2133:
	global_store_dwordx2 v[0:1], v[8:9], off
	s_mov_b64 s[0:1], 0
.LBB9_2134:
	s_andn2_b64 vcc, exec, s[0:1]
	s_cbranch_vccnz .LBB9_2136
; %bb.2135:
	v_cvt_f32_f64_e32 v2, v[8:9]
	global_store_dword v[0:1], v2, off
.LBB9_2136:
	s_mov_b64 s[0:1], 0
.LBB9_2137:
	s_andn2_b64 vcc, exec, s[0:1]
	s_cbranch_vccnz .LBB9_2139
; %bb.2138:
	s_movk_i32 s0, 0x1ff
	v_and_or_b32 v2, v9, s0, v8
	v_cmp_ne_u32_e32 vcc, 0, v2
	v_lshrrev_b32_e32 v3, 8, v9
	s_movk_i32 s0, 0xffe
	v_cndmask_b32_e64 v2, 0, 1, vcc
	v_bfe_u32 v4, v9, 20, 11
	v_and_or_b32 v2, v3, s0, v2
	v_sub_u32_e32 v5, 0x3f1, v4
	v_or_b32_e32 v3, 0x1000, v2
	v_med3_i32 v5, v5, 0, 13
	v_lshrrev_b32_e32 v6, v5, v3
	v_lshlrev_b32_e32 v5, v5, v6
	v_cmp_ne_u32_e32 vcc, v5, v3
	v_add_u32_e32 v4, 0xfffffc10, v4
	v_lshl_or_b32 v5, v4, 12, v2
	v_cndmask_b32_e64 v3, 0, 1, vcc
	v_or_b32_e32 v3, v6, v3
	v_cmp_gt_i32_e32 vcc, 1, v4
	s_movk_i32 s0, 0x40f
	s_nop 0
	v_cndmask_b32_e32 v3, v5, v3, vcc
	v_and_b32_e32 v5, 7, v3
	v_cmp_lt_i32_e32 vcc, 5, v5
	v_lshrrev_b32_e32 v3, 2, v3
	s_nop 0
	v_cndmask_b32_e64 v6, 0, 1, vcc
	v_cmp_eq_u32_e32 vcc, 3, v5
	s_nop 1
	v_cndmask_b32_e64 v5, 0, 1, vcc
	v_or_b32_e32 v5, v5, v6
	v_add_u32_e32 v3, v3, v5
	v_mov_b32_e32 v5, 0x7c00
	v_cmp_gt_i32_e32 vcc, 31, v4
	v_mov_b32_e32 v6, 0x7e00
	s_nop 0
	v_cndmask_b32_e32 v3, v5, v3, vcc
	v_cmp_ne_u32_e32 vcc, 0, v2
	s_nop 1
	v_cndmask_b32_e32 v2, v5, v6, vcc
	v_cmp_eq_u32_e32 vcc, s0, v4
	s_mov_b32 s0, 0x8000
	s_nop 0
	v_cndmask_b32_e32 v2, v3, v2, vcc
	v_lshrrev_b32_e32 v3, 16, v9
	v_and_or_b32 v2, v3, s0, v2
	global_store_short v[0:1], v2, off
.LBB9_2139:
	s_mov_b64 s[0:1], 0
.LBB9_2140:
	s_andn2_b64 vcc, exec, s[0:1]
	s_cbranch_vccnz .LBB9_2156
; %bb.2141:
	s_cmp_lt_i32 s6, 2
	s_mov_b64 s[0:1], -1
	s_cbranch_scc1 .LBB9_2151
; %bb.2142:
	s_cmp_lt_i32 s6, 3
	s_cbranch_scc1 .LBB9_2148
; %bb.2143:
	s_cmp_gt_i32 s6, 3
	s_cbranch_scc0 .LBB9_2145
; %bb.2144:
	v_trunc_f64_e32 v[2:3], v[8:9]
	s_movk_i32 s0, 0xffe0
	v_ldexp_f64 v[4:5], v[2:3], s0
	v_floor_f64_e32 v[4:5], v[4:5]
	v_fmac_f64_e32 v[2:3], 0xc1f00000, v[4:5]
	v_cvt_i32_f64_e32 v7, v[4:5]
	v_cvt_u32_f64_e32 v6, v[2:3]
	global_store_dwordx2 v[0:1], v[6:7], off
	s_mov_b64 s[0:1], 0
.LBB9_2145:
	s_andn2_b64 vcc, exec, s[0:1]
	s_cbranch_vccnz .LBB9_2147
; %bb.2146:
	v_cvt_i32_f64_e32 v2, v[8:9]
	global_store_dword v[0:1], v2, off
.LBB9_2147:
	s_mov_b64 s[0:1], 0
.LBB9_2148:
	s_andn2_b64 vcc, exec, s[0:1]
	s_cbranch_vccnz .LBB9_2150
; %bb.2149:
	v_cvt_i32_f64_e32 v2, v[8:9]
	global_store_short v[0:1], v2, off
.LBB9_2150:
	s_mov_b64 s[0:1], 0
.LBB9_2151:
	s_andn2_b64 vcc, exec, s[0:1]
	s_cbranch_vccnz .LBB9_2156
; %bb.2152:
	s_cmp_gt_i32 s6, 0
	s_mov_b64 s[0:1], -1
	s_cbranch_scc0 .LBB9_2154
; %bb.2153:
	v_cvt_i32_f64_e32 v2, v[8:9]
	global_store_byte v[0:1], v2, off
	s_mov_b64 s[0:1], 0
.LBB9_2154:
	s_andn2_b64 vcc, exec, s[0:1]
	s_cbranch_vccnz .LBB9_2156
; %bb.2155:
	v_trunc_f64_e32 v[2:3], v[8:9]
	s_movk_i32 s0, 0xffe0
	v_ldexp_f64 v[4:5], v[2:3], s0
	v_floor_f64_e32 v[4:5], v[4:5]
	v_fmac_f64_e32 v[2:3], 0xc1f00000, v[4:5]
	v_cvt_u32_f64_e32 v2, v[2:3]
	global_store_byte v[0:1], v2, off
.LBB9_2156:
	s_mov_b64 s[8:9], -1
.LBB9_2157:
	s_andn2_b64 vcc, exec, s[8:9]
	s_cbranch_vccnz .LBB9_2234
; %bb.2158:
	v_mov_b32_e32 v15, 0
	s_cmp_lt_i32 s14, 11
	v_lshl_add_u64 v[0:1], s[4:5], 0, v[14:15]
	s_cbranch_scc1 .LBB9_2235
; %bb.2159:
	s_and_b32 s12, 0xffff, s14
	s_mov_b64 s[6:7], -1
	s_mov_b64 s[4:5], 0
	s_cmp_gt_i32 s12, 25
	s_mov_b64 s[0:1], 0
	s_cbranch_scc0 .LBB9_2192
; %bb.2160:
	s_cmp_gt_i32 s12, 28
	s_cbranch_scc0 .LBB9_2176
; %bb.2161:
	s_cmp_gt_i32 s12, 43
	;; [unrolled: 3-line block ×3, first 2 shown]
	s_cbranch_scc0 .LBB9_2166
; %bb.2163:
	s_cmp_eq_u32 s12, 46
	s_mov_b64 s[0:1], -1
	s_cbranch_scc0 .LBB9_2165
; %bb.2164:
	v_cvt_f32_f64_e32 v2, v[12:13]
	v_bfe_u32 v3, v2, 16, 1
	s_movk_i32 s0, 0x7fff
	v_add3_u32 v3, v2, v3, s0
	v_cmp_o_f32_e32 vcc, v2, v2
	v_mov_b32_e32 v2, 0x7fc0
	s_mov_b64 s[0:1], 0
	v_cndmask_b32_sdwa v2, v2, v3, vcc dst_sel:DWORD dst_unused:UNUSED_PAD src0_sel:DWORD src1_sel:WORD_1
	global_store_dword v[0:1], v2, off
.LBB9_2165:
	s_mov_b64 s[6:7], 0
.LBB9_2166:
	s_and_b64 vcc, exec, s[6:7]
	s_cbranch_vccz .LBB9_2171
; %bb.2167:
	s_cmp_eq_u32 s12, 44
	s_mov_b64 s[0:1], -1
	s_cbranch_scc0 .LBB9_2171
; %bb.2168:
	v_cvt_f32_f64_e32 v2, v[12:13]
	v_bfe_u32 v3, v2, 23, 8
	s_movk_i32 s0, 0xff
	v_cmp_ne_u32_e32 vcc, s0, v3
	v_mov_b32_e32 v4, 0xff
	s_and_saveexec_b64 s[6:7], vcc
; %bb.2169:
	s_mov_b32 s0, 0x3fffff
	v_lshrrev_b32_e32 v4, 23, v2
	v_and_b32_e32 v5, 0x400000, v2
	v_and_or_b32 v2, v2, s0, v3
	v_cmp_ne_u32_e32 vcc, 0, v5
	v_cmp_ne_u32_e64 s[0:1], 0, v2
	s_and_b64 s[0:1], vcc, s[0:1]
	s_nop 0
	v_cndmask_b32_e64 v2, 0, 1, s[0:1]
	v_add_u32_e32 v4, v4, v2
; %bb.2170:
	s_or_b64 exec, exec, s[6:7]
	s_mov_b64 s[0:1], 0
	global_store_byte v[0:1], v4, off
.LBB9_2171:
	s_mov_b64 s[6:7], 0
.LBB9_2172:
	s_and_b64 vcc, exec, s[6:7]
	s_cbranch_vccz .LBB9_2175
; %bb.2173:
	s_cmp_eq_u32 s12, 29
	s_mov_b64 s[0:1], -1
	s_cbranch_scc0 .LBB9_2175
; %bb.2174:
	v_trunc_f64_e32 v[2:3], v[12:13]
	s_movk_i32 s0, 0xffe0
	v_ldexp_f64 v[4:5], v[2:3], s0
	v_floor_f64_e32 v[4:5], v[4:5]
	v_fmac_f64_e32 v[2:3], 0xc1f00000, v[4:5]
	v_cvt_u32_f64_e32 v7, v[4:5]
	v_cvt_u32_f64_e32 v6, v[2:3]
	global_store_dwordx2 v[0:1], v[6:7], off
	s_mov_b64 s[0:1], 0
.LBB9_2175:
	s_mov_b64 s[6:7], 0
.LBB9_2176:
	s_and_b64 vcc, exec, s[6:7]
	s_cbranch_vccz .LBB9_2191
; %bb.2177:
	s_cmp_lt_i32 s12, 27
	s_mov_b64 s[6:7], -1
	s_cbranch_scc1 .LBB9_2183
; %bb.2178:
	s_cmp_gt_i32 s12, 27
	s_cbranch_scc0 .LBB9_2180
; %bb.2179:
	v_cvt_u32_f64_e32 v2, v[12:13]
	global_store_dword v[0:1], v2, off
	s_mov_b64 s[6:7], 0
.LBB9_2180:
	s_andn2_b64 vcc, exec, s[6:7]
	s_cbranch_vccnz .LBB9_2182
; %bb.2181:
	v_cvt_u32_f64_e32 v2, v[12:13]
	global_store_short v[0:1], v2, off
.LBB9_2182:
	s_mov_b64 s[6:7], 0
.LBB9_2183:
	s_andn2_b64 vcc, exec, s[6:7]
	s_cbranch_vccnz .LBB9_2191
; %bb.2184:
	v_cvt_f32_f64_e32 v2, v[12:13]
	v_and_b32_e32 v3, 0x7fffffff, v2
	s_mov_b32 s6, 0x43800000
	v_cmp_gt_u32_e32 vcc, s6, v3
	v_mov_b32_e32 v4, 0x80
	s_and_saveexec_b64 s[6:7], vcc
	s_cbranch_execz .LBB9_2190
; %bb.2185:
	s_mov_b32 s8, 0x3bffffff
	v_cmp_lt_u32_e32 vcc, s8, v3
	s_mov_b64 s[8:9], 0
                                        ; implicit-def: $vgpr3
	s_and_saveexec_b64 s[10:11], vcc
	s_xor_b64 s[10:11], exec, s[10:11]
	s_cbranch_execz .LBB9_2252
; %bb.2186:
	v_bfe_u32 v3, v2, 20, 1
	s_mov_b32 s13, 0x487ffff
	v_add3_u32 v3, v2, v3, s13
	s_mov_b64 s[8:9], exec
	v_lshrrev_b32_e32 v3, 20, v3
	s_andn2_saveexec_b64 s[10:11], s[10:11]
	s_cbranch_execnz .LBB9_2253
.LBB9_2187:
	s_or_b64 exec, exec, s[10:11]
	v_mov_b32_e32 v4, 0
	s_and_saveexec_b64 s[10:11], s[8:9]
.LBB9_2188:
	v_lshrrev_b32_e32 v2, 24, v2
	s_movk_i32 s8, 0x80
	v_and_or_b32 v4, v2, s8, v3
.LBB9_2189:
	s_or_b64 exec, exec, s[10:11]
.LBB9_2190:
	s_or_b64 exec, exec, s[6:7]
	global_store_byte v[0:1], v4, off
.LBB9_2191:
	s_mov_b64 s[6:7], 0
.LBB9_2192:
	s_and_b64 vcc, exec, s[6:7]
	s_cbranch_vccz .LBB9_2232
; %bb.2193:
	s_cmp_gt_i32 s12, 22
	s_mov_b64 s[4:5], -1
	s_cbranch_scc0 .LBB9_2225
; %bb.2194:
	s_cmp_lt_i32 s12, 24
	s_cbranch_scc1 .LBB9_2214
; %bb.2195:
	s_cmp_gt_i32 s12, 24
	s_cbranch_scc0 .LBB9_2203
; %bb.2196:
	v_cvt_f32_f64_e32 v2, v[12:13]
	v_and_b32_e32 v3, 0x7fffffff, v2
	s_mov_b32 s4, 0x47800000
	v_cmp_gt_u32_e32 vcc, s4, v3
	v_mov_b32_e32 v4, 0x80
	s_and_saveexec_b64 s[4:5], vcc
	s_cbranch_execz .LBB9_2202
; %bb.2197:
	s_mov_b32 s6, 0x37ffffff
	v_cmp_lt_u32_e32 vcc, s6, v3
	s_mov_b64 s[6:7], 0
                                        ; implicit-def: $vgpr3
	s_and_saveexec_b64 s[8:9], vcc
	s_xor_b64 s[8:9], exec, s[8:9]
	s_cbranch_execz .LBB9_2255
; %bb.2198:
	v_bfe_u32 v3, v2, 21, 1
	s_mov_b32 s10, 0x88fffff
	v_add3_u32 v3, v2, v3, s10
	s_mov_b64 s[6:7], exec
	v_lshrrev_b32_e32 v3, 21, v3
	s_andn2_saveexec_b64 s[8:9], s[8:9]
	s_cbranch_execnz .LBB9_2256
.LBB9_2199:
	s_or_b64 exec, exec, s[8:9]
	v_mov_b32_e32 v4, 0
	s_and_saveexec_b64 s[8:9], s[6:7]
.LBB9_2200:
	v_lshrrev_b32_e32 v2, 24, v2
	s_movk_i32 s6, 0x80
	v_and_or_b32 v4, v2, s6, v3
.LBB9_2201:
	s_or_b64 exec, exec, s[8:9]
.LBB9_2202:
	s_or_b64 exec, exec, s[4:5]
	s_mov_b64 s[4:5], 0
	global_store_byte v[0:1], v4, off
.LBB9_2203:
	s_and_b64 vcc, exec, s[4:5]
	s_cbranch_vccz .LBB9_2213
; %bb.2204:
	v_cvt_f32_f64_e32 v2, v[12:13]
	v_and_b32_e32 v4, 0x7fffffff, v2
	s_mov_b32 s4, 0x43f00000
	v_cmp_gt_u32_e32 vcc, s4, v4
                                        ; implicit-def: $vgpr3
	s_and_saveexec_b64 s[4:5], vcc
	s_xor_b64 s[4:5], exec, s[4:5]
	s_cbranch_execz .LBB9_2210
; %bb.2205:
	s_mov_b32 s6, 0x3c7fffff
	v_cmp_lt_u32_e32 vcc, s6, v4
                                        ; implicit-def: $vgpr3
	s_and_saveexec_b64 s[6:7], vcc
	s_xor_b64 s[6:7], exec, s[6:7]
; %bb.2206:
	v_bfe_u32 v3, v2, 20, 1
	s_mov_b32 s8, 0x407ffff
	v_add3_u32 v3, v2, v3, s8
	v_lshrrev_b32_e32 v4, 20, v3
	v_and_b32_e32 v3, 0xff00000, v3
	s_mov_b32 s8, 0x7f00000
	v_mov_b32_e32 v5, 0x7e
	v_cmp_ne_u32_e32 vcc, s8, v3
	s_nop 1
	v_cndmask_b32_e32 v3, v5, v4, vcc
; %bb.2207:
	s_andn2_saveexec_b64 s[6:7], s[6:7]
; %bb.2208:
	s_mov_b32 s8, 0x46800000
	v_add_f32_e64 v3, |v2|, s8
; %bb.2209:
	s_or_b64 exec, exec, s[6:7]
                                        ; implicit-def: $vgpr4
.LBB9_2210:
	s_andn2_saveexec_b64 s[4:5], s[4:5]
; %bb.2211:
	s_mov_b32 s6, 0x7f800000
	v_mov_b32_e32 v3, 0x7e
	v_mov_b32_e32 v5, 0x7f
	v_cmp_lt_u32_e32 vcc, s6, v4
	s_nop 1
	v_cndmask_b32_e32 v3, v3, v5, vcc
; %bb.2212:
	s_or_b64 exec, exec, s[4:5]
	v_lshrrev_b32_e32 v2, 24, v2
	s_movk_i32 s4, 0x80
	v_and_or_b32 v2, v2, s4, v3
	global_store_byte v[0:1], v2, off
.LBB9_2213:
	s_mov_b64 s[4:5], 0
.LBB9_2214:
	s_andn2_b64 vcc, exec, s[4:5]
	s_cbranch_vccnz .LBB9_2224
; %bb.2215:
	v_cvt_f32_f64_e32 v2, v[12:13]
	v_and_b32_e32 v4, 0x7fffffff, v2
	s_mov_b32 s4, 0x47800000
	v_cmp_gt_u32_e32 vcc, s4, v4
                                        ; implicit-def: $vgpr3
	s_and_saveexec_b64 s[4:5], vcc
	s_xor_b64 s[4:5], exec, s[4:5]
	s_cbranch_execz .LBB9_2221
; %bb.2216:
	s_mov_b32 s6, 0x387fffff
	v_cmp_lt_u32_e32 vcc, s6, v4
                                        ; implicit-def: $vgpr3
	s_and_saveexec_b64 s[6:7], vcc
	s_xor_b64 s[6:7], exec, s[6:7]
; %bb.2217:
	v_bfe_u32 v3, v2, 21, 1
	s_mov_b32 s8, 0x80fffff
	v_add3_u32 v3, v2, v3, s8
	v_lshrrev_b32_e32 v3, 21, v3
; %bb.2218:
	s_andn2_saveexec_b64 s[6:7], s[6:7]
; %bb.2219:
	s_mov_b32 s8, 0x43000000
	v_add_f32_e64 v3, |v2|, s8
; %bb.2220:
	s_or_b64 exec, exec, s[6:7]
                                        ; implicit-def: $vgpr4
.LBB9_2221:
	s_andn2_saveexec_b64 s[4:5], s[4:5]
; %bb.2222:
	s_mov_b32 s6, 0x7f800000
	v_mov_b32_e32 v3, 0x7c
	v_mov_b32_e32 v5, 0x7f
	v_cmp_lt_u32_e32 vcc, s6, v4
	s_nop 1
	v_cndmask_b32_e32 v3, v3, v5, vcc
; %bb.2223:
	s_or_b64 exec, exec, s[4:5]
	v_lshrrev_b32_e32 v2, 24, v2
	s_movk_i32 s4, 0x80
	v_and_or_b32 v2, v2, s4, v3
	global_store_byte v[0:1], v2, off
.LBB9_2224:
	s_mov_b64 s[4:5], 0
.LBB9_2225:
	s_andn2_b64 vcc, exec, s[4:5]
	s_mov_b64 s[4:5], 0
	s_cbranch_vccnz .LBB9_2232
; %bb.2226:
	s_cmp_gt_i32 s12, 14
	s_mov_b64 s[6:7], -1
	s_cbranch_scc0 .LBB9_2230
; %bb.2227:
	s_cmp_eq_u32 s12, 15
	s_mov_b64 s[0:1], -1
	s_cbranch_scc0 .LBB9_2229
; %bb.2228:
	v_cvt_f32_f64_e32 v2, v[12:13]
	v_bfe_u32 v3, v2, 16, 1
	s_movk_i32 s0, 0x7fff
	v_add3_u32 v3, v2, v3, s0
	v_cmp_o_f32_e32 vcc, v2, v2
	v_mov_b32_e32 v2, 0x7fc0
	s_mov_b64 s[0:1], 0
	v_cndmask_b32_sdwa v2, v2, v3, vcc dst_sel:DWORD dst_unused:UNUSED_PAD src0_sel:DWORD src1_sel:WORD_1
	global_store_short v[0:1], v2, off
.LBB9_2229:
	s_mov_b64 s[6:7], 0
.LBB9_2230:
	s_and_b64 vcc, exec, s[6:7]
	s_cbranch_vccz .LBB9_2232
; %bb.2231:
	s_cmp_lg_u32 s12, 11
	s_mov_b64 s[4:5], -1
	s_cselect_b64 s[0:1], -1, 0
.LBB9_2232:
	s_and_b64 vcc, exec, s[0:1]
	s_cbranch_vccnz .LBB9_2254
.LBB9_2233:
	s_mov_b64 s[0:1], 0
	s_branch .LBB9_1835
.LBB9_2234:
	s_mov_b64 s[0:1], 0
                                        ; implicit-def: $vgpr0_vgpr1
                                        ; implicit-def: $sgpr14
	s_branch .LBB9_1834
.LBB9_2235:
	s_mov_b64 s[4:5], 0
	s_mov_b64 s[0:1], -1
	s_branch .LBB9_1835
.LBB9_2236:
	s_trap 2
	s_or_b64 s[2:3], s[2:3], exec
	s_cbranch_execz .LBB9_1691
	s_branch .LBB9_1692
.LBB9_2237:
	s_andn2_saveexec_b64 s[12:13], s[12:13]
	s_cbranch_execz .LBB9_1783
.LBB9_2238:
	s_mov_b32 s17, 0x46000000
	v_add_f32_e64 v3, |v2|, s17
	v_and_b32_e32 v3, 0xff, v3
	v_cmp_ne_u32_e32 vcc, 0, v3
	s_andn2_b64 s[10:11], s[10:11], exec
	s_and_b64 s[18:19], vcc, exec
	s_or_b64 s[10:11], s[10:11], s[18:19]
	s_or_b64 exec, exec, s[12:13]
	v_mov_b32_e32 v7, 0
	s_and_saveexec_b64 s[12:13], s[10:11]
	s_cbranch_execnz .LBB9_1784
	s_branch .LBB9_1785
.LBB9_2239:
	s_trap 2
	s_or_b64 s[2:3], s[2:3], exec
	s_cbranch_execz .LBB9_1831
	s_branch .LBB9_1832
.LBB9_2240:
	s_andn2_saveexec_b64 s[10:11], s[10:11]
	s_cbranch_execz .LBB9_1796
.LBB9_2241:
	s_mov_b32 s12, 0x42800000
	v_add_f32_e64 v3, |v2|, s12
	v_and_b32_e32 v3, 0xff, v3
	v_cmp_ne_u32_e32 vcc, 0, v3
	s_andn2_b64 s[8:9], s[8:9], exec
	s_and_b64 s[12:13], vcc, exec
	s_or_b64 s[8:9], s[8:9], s[12:13]
	s_or_b64 exec, exec, s[10:11]
	v_mov_b32_e32 v7, 0
	s_and_saveexec_b64 s[10:11], s[8:9]
	s_cbranch_execnz .LBB9_1797
	s_branch .LBB9_1798
.LBB9_2242:
	s_andn2_saveexec_b64 s[12:13], s[12:13]
	s_cbranch_execz .LBB9_1948
.LBB9_2243:
	s_mov_b32 s16, 0x46000000
	v_add_f32_e64 v3, |v2|, s16
	v_and_b32_e32 v3, 0xff, v3
	v_cmp_ne_u32_e32 vcc, 0, v3
	s_andn2_b64 s[10:11], s[10:11], exec
	s_and_b64 s[16:17], vcc, exec
	s_or_b64 s[10:11], s[10:11], s[16:17]
	s_or_b64 exec, exec, s[12:13]
	v_mov_b32_e32 v6, 0
	s_and_saveexec_b64 s[12:13], s[10:11]
	s_cbranch_execnz .LBB9_1949
	s_branch .LBB9_1950
.LBB9_2244:
	s_trap 2
	s_or_b64 s[2:3], s[2:3], exec
	s_cbranch_execz .LBB9_1996
	s_branch .LBB9_1997
.LBB9_2245:
	s_andn2_saveexec_b64 s[10:11], s[10:11]
	s_cbranch_execz .LBB9_1961
.LBB9_2246:
	s_mov_b32 s12, 0x42800000
	v_add_f32_e64 v3, |v2|, s12
	v_and_b32_e32 v3, 0xff, v3
	v_cmp_ne_u32_e32 vcc, 0, v3
	s_andn2_b64 s[8:9], s[8:9], exec
	s_and_b64 s[12:13], vcc, exec
	s_or_b64 s[8:9], s[8:9], s[12:13]
	s_or_b64 exec, exec, s[10:11]
	v_mov_b32_e32 v6, 0
	s_and_saveexec_b64 s[10:11], s[8:9]
	s_cbranch_execnz .LBB9_1962
	s_branch .LBB9_1963
.LBB9_2247:
	s_andn2_saveexec_b64 s[12:13], s[12:13]
	s_cbranch_execz .LBB9_2067
.LBB9_2248:
	s_mov_b32 s16, 0x46000000
	v_add_f32_e64 v3, |v2|, s16
	v_and_b32_e32 v3, 0xff, v3
	v_cmp_ne_u32_e32 vcc, 0, v3
	s_andn2_b64 s[10:11], s[10:11], exec
	s_and_b64 s[16:17], vcc, exec
	s_or_b64 s[10:11], s[10:11], s[16:17]
	s_or_b64 exec, exec, s[12:13]
	v_mov_b32_e32 v4, 0
	s_and_saveexec_b64 s[12:13], s[10:11]
	s_cbranch_execnz .LBB9_2068
	s_branch .LBB9_2069
.LBB9_2249:
	s_trap 2
	s_or_b64 s[2:3], s[2:3], exec
	s_cbranch_execz .LBB9_2115
	s_branch .LBB9_2116
.LBB9_2250:
	s_andn2_saveexec_b64 s[10:11], s[10:11]
	s_cbranch_execz .LBB9_2080
.LBB9_2251:
	s_mov_b32 s12, 0x42800000
	v_add_f32_e64 v3, |v2|, s12
	v_and_b32_e32 v3, 0xff, v3
	v_cmp_ne_u32_e32 vcc, 0, v3
	s_andn2_b64 s[8:9], s[8:9], exec
	s_and_b64 s[12:13], vcc, exec
	s_or_b64 s[8:9], s[8:9], s[12:13]
	s_or_b64 exec, exec, s[10:11]
	v_mov_b32_e32 v4, 0
	s_and_saveexec_b64 s[10:11], s[8:9]
	s_cbranch_execnz .LBB9_2081
	s_branch .LBB9_2082
.LBB9_2252:
	s_andn2_saveexec_b64 s[10:11], s[10:11]
	s_cbranch_execz .LBB9_2187
.LBB9_2253:
	s_mov_b32 s13, 0x46000000
	v_add_f32_e64 v3, |v2|, s13
	v_and_b32_e32 v3, 0xff, v3
	v_cmp_ne_u32_e32 vcc, 0, v3
	s_andn2_b64 s[8:9], s[8:9], exec
	s_and_b64 s[16:17], vcc, exec
	s_or_b64 s[8:9], s[8:9], s[16:17]
	s_or_b64 exec, exec, s[10:11]
	v_mov_b32_e32 v4, 0
	s_and_saveexec_b64 s[10:11], s[8:9]
	s_cbranch_execnz .LBB9_2188
	s_branch .LBB9_2189
.LBB9_2254:
	s_mov_b64 s[4:5], 0
	s_or_b64 s[2:3], s[2:3], exec
	s_trap 2
	s_branch .LBB9_2233
.LBB9_2255:
	s_andn2_saveexec_b64 s[8:9], s[8:9]
	s_cbranch_execz .LBB9_2199
.LBB9_2256:
	s_mov_b32 s10, 0x42800000
	v_add_f32_e64 v3, |v2|, s10
	v_and_b32_e32 v3, 0xff, v3
	v_cmp_ne_u32_e32 vcc, 0, v3
	s_andn2_b64 s[6:7], s[6:7], exec
	s_and_b64 s[10:11], vcc, exec
	s_or_b64 s[6:7], s[6:7], s[10:11]
	s_or_b64 exec, exec, s[8:9]
	v_mov_b32_e32 v4, 0
	s_and_saveexec_b64 s[8:9], s[6:7]
	s_cbranch_execnz .LBB9_2200
	s_branch .LBB9_2201
	.section	.rodata,"a",@progbits
	.p2align	6, 0x0
	.amdhsa_kernel _ZN2at6native32elementwise_kernel_manual_unrollILi128ELi4EZNS0_15gpu_kernel_implIZZZNS0_12_GLOBAL__N_130modified_bessel_i1_kernel_cudaERNS_18TensorIteratorBaseEENKUlvE_clEvENKUlvE_clEvEUldE_EEvS5_RKT_EUlibE0_EEviT1_
		.amdhsa_group_segment_fixed_size 0
		.amdhsa_private_segment_fixed_size 0
		.amdhsa_kernarg_size 360
		.amdhsa_user_sgpr_count 2
		.amdhsa_user_sgpr_dispatch_ptr 0
		.amdhsa_user_sgpr_queue_ptr 0
		.amdhsa_user_sgpr_kernarg_segment_ptr 1
		.amdhsa_user_sgpr_dispatch_id 0
		.amdhsa_user_sgpr_kernarg_preload_length 0
		.amdhsa_user_sgpr_kernarg_preload_offset 0
		.amdhsa_user_sgpr_private_segment_size 0
		.amdhsa_uses_dynamic_stack 0
		.amdhsa_enable_private_segment 0
		.amdhsa_system_sgpr_workgroup_id_x 1
		.amdhsa_system_sgpr_workgroup_id_y 0
		.amdhsa_system_sgpr_workgroup_id_z 0
		.amdhsa_system_sgpr_workgroup_info 0
		.amdhsa_system_vgpr_workitem_id 0
		.amdhsa_next_free_vgpr 28
		.amdhsa_next_free_sgpr 78
		.amdhsa_accum_offset 28
		.amdhsa_reserve_vcc 1
		.amdhsa_float_round_mode_32 0
		.amdhsa_float_round_mode_16_64 0
		.amdhsa_float_denorm_mode_32 3
		.amdhsa_float_denorm_mode_16_64 3
		.amdhsa_dx10_clamp 1
		.amdhsa_ieee_mode 1
		.amdhsa_fp16_overflow 0
		.amdhsa_tg_split 0
		.amdhsa_exception_fp_ieee_invalid_op 0
		.amdhsa_exception_fp_denorm_src 0
		.amdhsa_exception_fp_ieee_div_zero 0
		.amdhsa_exception_fp_ieee_overflow 0
		.amdhsa_exception_fp_ieee_underflow 0
		.amdhsa_exception_fp_ieee_inexact 0
		.amdhsa_exception_int_div_zero 0
	.end_amdhsa_kernel
	.section	.text._ZN2at6native32elementwise_kernel_manual_unrollILi128ELi4EZNS0_15gpu_kernel_implIZZZNS0_12_GLOBAL__N_130modified_bessel_i1_kernel_cudaERNS_18TensorIteratorBaseEENKUlvE_clEvENKUlvE_clEvEUldE_EEvS5_RKT_EUlibE0_EEviT1_,"axG",@progbits,_ZN2at6native32elementwise_kernel_manual_unrollILi128ELi4EZNS0_15gpu_kernel_implIZZZNS0_12_GLOBAL__N_130modified_bessel_i1_kernel_cudaERNS_18TensorIteratorBaseEENKUlvE_clEvENKUlvE_clEvEUldE_EEvS5_RKT_EUlibE0_EEviT1_,comdat
.Lfunc_end9:
	.size	_ZN2at6native32elementwise_kernel_manual_unrollILi128ELi4EZNS0_15gpu_kernel_implIZZZNS0_12_GLOBAL__N_130modified_bessel_i1_kernel_cudaERNS_18TensorIteratorBaseEENKUlvE_clEvENKUlvE_clEvEUldE_EEvS5_RKT_EUlibE0_EEviT1_, .Lfunc_end9-_ZN2at6native32elementwise_kernel_manual_unrollILi128ELi4EZNS0_15gpu_kernel_implIZZZNS0_12_GLOBAL__N_130modified_bessel_i1_kernel_cudaERNS_18TensorIteratorBaseEENKUlvE_clEvENKUlvE_clEvEUldE_EEvS5_RKT_EUlibE0_EEviT1_
                                        ; -- End function
	.set _ZN2at6native32elementwise_kernel_manual_unrollILi128ELi4EZNS0_15gpu_kernel_implIZZZNS0_12_GLOBAL__N_130modified_bessel_i1_kernel_cudaERNS_18TensorIteratorBaseEENKUlvE_clEvENKUlvE_clEvEUldE_EEvS5_RKT_EUlibE0_EEviT1_.num_vgpr, 28
	.set _ZN2at6native32elementwise_kernel_manual_unrollILi128ELi4EZNS0_15gpu_kernel_implIZZZNS0_12_GLOBAL__N_130modified_bessel_i1_kernel_cudaERNS_18TensorIteratorBaseEENKUlvE_clEvENKUlvE_clEvEUldE_EEvS5_RKT_EUlibE0_EEviT1_.num_agpr, 0
	.set _ZN2at6native32elementwise_kernel_manual_unrollILi128ELi4EZNS0_15gpu_kernel_implIZZZNS0_12_GLOBAL__N_130modified_bessel_i1_kernel_cudaERNS_18TensorIteratorBaseEENKUlvE_clEvENKUlvE_clEvEUldE_EEvS5_RKT_EUlibE0_EEviT1_.numbered_sgpr, 78
	.set _ZN2at6native32elementwise_kernel_manual_unrollILi128ELi4EZNS0_15gpu_kernel_implIZZZNS0_12_GLOBAL__N_130modified_bessel_i1_kernel_cudaERNS_18TensorIteratorBaseEENKUlvE_clEvENKUlvE_clEvEUldE_EEvS5_RKT_EUlibE0_EEviT1_.num_named_barrier, 0
	.set _ZN2at6native32elementwise_kernel_manual_unrollILi128ELi4EZNS0_15gpu_kernel_implIZZZNS0_12_GLOBAL__N_130modified_bessel_i1_kernel_cudaERNS_18TensorIteratorBaseEENKUlvE_clEvENKUlvE_clEvEUldE_EEvS5_RKT_EUlibE0_EEviT1_.private_seg_size, 0
	.set _ZN2at6native32elementwise_kernel_manual_unrollILi128ELi4EZNS0_15gpu_kernel_implIZZZNS0_12_GLOBAL__N_130modified_bessel_i1_kernel_cudaERNS_18TensorIteratorBaseEENKUlvE_clEvENKUlvE_clEvEUldE_EEvS5_RKT_EUlibE0_EEviT1_.uses_vcc, 1
	.set _ZN2at6native32elementwise_kernel_manual_unrollILi128ELi4EZNS0_15gpu_kernel_implIZZZNS0_12_GLOBAL__N_130modified_bessel_i1_kernel_cudaERNS_18TensorIteratorBaseEENKUlvE_clEvENKUlvE_clEvEUldE_EEvS5_RKT_EUlibE0_EEviT1_.uses_flat_scratch, 0
	.set _ZN2at6native32elementwise_kernel_manual_unrollILi128ELi4EZNS0_15gpu_kernel_implIZZZNS0_12_GLOBAL__N_130modified_bessel_i1_kernel_cudaERNS_18TensorIteratorBaseEENKUlvE_clEvENKUlvE_clEvEUldE_EEvS5_RKT_EUlibE0_EEviT1_.has_dyn_sized_stack, 0
	.set _ZN2at6native32elementwise_kernel_manual_unrollILi128ELi4EZNS0_15gpu_kernel_implIZZZNS0_12_GLOBAL__N_130modified_bessel_i1_kernel_cudaERNS_18TensorIteratorBaseEENKUlvE_clEvENKUlvE_clEvEUldE_EEvS5_RKT_EUlibE0_EEviT1_.has_recursion, 0
	.set _ZN2at6native32elementwise_kernel_manual_unrollILi128ELi4EZNS0_15gpu_kernel_implIZZZNS0_12_GLOBAL__N_130modified_bessel_i1_kernel_cudaERNS_18TensorIteratorBaseEENKUlvE_clEvENKUlvE_clEvEUldE_EEvS5_RKT_EUlibE0_EEviT1_.has_indirect_call, 0
	.section	.AMDGPU.csdata,"",@progbits
; Kernel info:
; codeLenInByte = 66428
; TotalNumSgprs: 84
; NumVgprs: 28
; NumAgprs: 0
; TotalNumVgprs: 28
; ScratchSize: 0
; MemoryBound: 1
; FloatMode: 240
; IeeeMode: 1
; LDSByteSize: 0 bytes/workgroup (compile time only)
; SGPRBlocks: 10
; VGPRBlocks: 3
; NumSGPRsForWavesPerEU: 84
; NumVGPRsForWavesPerEU: 28
; AccumOffset: 28
; Occupancy: 8
; WaveLimiterHint : 1
; COMPUTE_PGM_RSRC2:SCRATCH_EN: 0
; COMPUTE_PGM_RSRC2:USER_SGPR: 2
; COMPUTE_PGM_RSRC2:TRAP_HANDLER: 0
; COMPUTE_PGM_RSRC2:TGID_X_EN: 1
; COMPUTE_PGM_RSRC2:TGID_Y_EN: 0
; COMPUTE_PGM_RSRC2:TGID_Z_EN: 0
; COMPUTE_PGM_RSRC2:TIDIG_COMP_CNT: 0
; COMPUTE_PGM_RSRC3_GFX90A:ACCUM_OFFSET: 6
; COMPUTE_PGM_RSRC3_GFX90A:TG_SPLIT: 0
	.text
	.p2align	2                               ; -- Begin function _ZN2at6native25elementwise_kernel_helperILb0EZZZNS0_12_GLOBAL__N_130modified_bessel_i1_kernel_cudaERNS_18TensorIteratorBaseEENKUlvE_clEvENKUlvE0_clEvEUlfE_NS0_6memory8policies11unroll_baseILi256ESt5arrayIPcLm2EE23TrivialOffsetCalculatorILi1EjESF_NS8_15LoadWithoutCastENS8_16StoreWithoutCastELi4ELi1EEEEEvT0_T1_
	.type	_ZN2at6native25elementwise_kernel_helperILb0EZZZNS0_12_GLOBAL__N_130modified_bessel_i1_kernel_cudaERNS_18TensorIteratorBaseEENKUlvE_clEvENKUlvE0_clEvEUlfE_NS0_6memory8policies11unroll_baseILi256ESt5arrayIPcLm2EE23TrivialOffsetCalculatorILi1EjESF_NS8_15LoadWithoutCastENS8_16StoreWithoutCastELi4ELi1EEEEEvT0_T1_,@function
_ZN2at6native25elementwise_kernel_helperILb0EZZZNS0_12_GLOBAL__N_130modified_bessel_i1_kernel_cudaERNS_18TensorIteratorBaseEENKUlvE_clEvENKUlvE0_clEvEUlfE_NS0_6memory8policies11unroll_baseILi256ESt5arrayIPcLm2EE23TrivialOffsetCalculatorILi1EjESF_NS8_15LoadWithoutCastENS8_16StoreWithoutCastELi4ELi1EEEEEvT0_T1_: ; @_ZN2at6native25elementwise_kernel_helperILb0EZZZNS0_12_GLOBAL__N_130modified_bessel_i1_kernel_cudaERNS_18TensorIteratorBaseEENKUlvE_clEvENKUlvE0_clEvEUlfE_NS0_6memory8policies11unroll_baseILi256ESt5arrayIPcLm2EE23TrivialOffsetCalculatorILi1EjESF_NS8_15LoadWithoutCastENS8_16StoreWithoutCastELi4ELi1EEEEEvT0_T1_
; %bb.0:
	s_waitcnt vmcnt(0) expcnt(0) lgkmcnt(0)
	v_and_b32_e32 v7, 0x3ff, v31
	s_lshl_b32 s10, s12, 10
	v_cmp_lt_i32_e64 s[0:1], v7, v4
	v_mov_b32_e32 v12, 0
	v_or_b32_e32 v8, s10, v7
	v_mov_b32_e32 v10, 0
	v_mov_b32_e32 v5, v7
	s_and_saveexec_b64 s[2:3], s[0:1]
	s_cbranch_execz .LBB10_2
; %bb.1:
	v_mov_b32_e32 v9, 0
	v_lshl_add_u64 v[10:11], v[8:9], 2, v[2:3]
	flat_load_dword v10, v[10:11]
	v_add_u32_e32 v5, 0x100, v7
.LBB10_2:
	s_or_b64 exec, exec, s[2:3]
	v_cmp_lt_i32_e32 vcc, v5, v4
	s_and_saveexec_b64 s[2:3], vcc
	s_cbranch_execz .LBB10_4
; %bb.3:
	v_add_u32_e32 v12, s10, v5
	v_mov_b32_e32 v13, 0
	v_lshl_add_u64 v[12:13], v[12:13], 2, v[2:3]
	flat_load_dword v12, v[12:13]
	v_add_u32_e32 v5, 0x100, v5
.LBB10_4:
	s_or_b64 exec, exec, s[2:3]
	v_cmp_lt_i32_e32 vcc, v5, v4
	v_mov_b32_e32 v9, 0
	v_mov_b32_e32 v11, 0
	s_and_saveexec_b64 s[2:3], vcc
	s_cbranch_execz .LBB10_6
; %bb.5:
	v_add_u32_e32 v14, s10, v5
	v_mov_b32_e32 v15, 0
	v_lshl_add_u64 v[14:15], v[14:15], 2, v[2:3]
	flat_load_dword v11, v[14:15]
	v_add_u32_e32 v5, 0x100, v5
.LBB10_6:
	s_or_b64 exec, exec, s[2:3]
	v_cmp_lt_i32_e32 vcc, v5, v4
	s_and_saveexec_b64 s[2:3], vcc
	s_cbranch_execz .LBB10_8
; %bb.7:
	v_add_u32_e32 v14, s10, v5
	v_mov_b32_e32 v15, 0
	v_lshl_add_u64 v[2:3], v[14:15], 2, v[2:3]
	flat_load_dword v9, v[2:3]
.LBB10_8:
	s_or_b64 exec, exec, s[2:3]
	v_mov_b32_e32 v2, 0
	v_mov_b32_e32 v5, v2
	;; [unrolled: 1-line block ×4, first 2 shown]
	s_and_saveexec_b64 s[4:5], s[0:1]
	s_cbranch_execz .LBB10_22
; %bb.9:
	s_mov_b32 s2, 0x41000000
	s_waitcnt vmcnt(0) lgkmcnt(0)
	v_cmp_le_f32_e64 s[2:3], |v10|, s2
                                        ; implicit-def: $vgpr2
	s_and_saveexec_b64 s[6:7], s[2:3]
	s_xor_b64 s[6:7], exec, s[6:7]
	s_cbranch_execz .LBB10_15
; %bb.10:
	v_fma_f32 v2, |v10|, 0.5, -2.0
	v_mov_b32_e32 v3, 0xa3c2be86
	v_fmac_f32_e32 v3, 0x224cf950, v2
	v_fmaak_f32 v5, v2, v3, 0xa24cf950
	v_add_f32_e32 v5, 0x25331f1f, v5
	v_fma_f32 v3, v2, v5, -v3
	v_add_f32_e32 v3, 0xa69f5554, v3
	v_fma_f32 v5, v2, v3, -v5
	;; [unrolled: 2-line block ×25, first 2 shown]
	v_add_f32_e32 v3, 0xbe34a688, v3
	s_mov_b32 s2, 0x3fb8aa3b
	v_fma_f32 v2, v2, v3, -v5
	v_mul_f32_e64 v3, |v10|, s2
	v_rndne_f32_e32 v6, v3
	v_sub_f32_e32 v13, v3, v6
	v_fma_f32 v3, |v10|, s2, -v3
	s_mov_b32 s2, 0x32a5705f
	v_fma_f32 v3, |v10|, s2, v3
	v_add_f32_e32 v3, v13, v3
	v_exp_f32_e32 v13, v3
	v_cvt_i32_f32_e32 v6, v6
	v_add_f32_e32 v2, 0x3e81531c, v2
	v_sub_f32_e32 v2, v2, v5
	v_mul_f32_e32 v2, 0.5, v2
	s_mov_b32 s2, 0xc2ce8ed0
	v_mul_f32_e64 v3, |v10|, v2
	v_ldexp_f32 v2, v13, v6
	v_cmp_nlt_f32_e64 s[2:3], |v10|, s2
	v_mov_b32_e32 v5, 0x7f800000
	v_cmp_ngt_f32_e32 vcc, 0, v10
	v_cndmask_b32_e64 v2, 0, v2, s[2:3]
	s_mov_b32 s2, 0x42b17218
	v_cmp_ngt_f32_e64 s[2:3], |v10|, s2
	s_nop 1
	v_cndmask_b32_e64 v5, v5, v2, s[2:3]
                                        ; implicit-def: $vgpr2
	s_and_saveexec_b64 s[2:3], vcc
	s_xor_b64 s[2:3], exec, s[2:3]
; %bb.11:
	v_mul_f32_e32 v2, v5, v3
                                        ; implicit-def: $vgpr5
                                        ; implicit-def: $vgpr3
; %bb.12:
	s_andn2_saveexec_b64 s[2:3], s[2:3]
; %bb.13:
	v_mul_f32_e64 v2, v3, -v5
; %bb.14:
	s_or_b64 exec, exec, s[2:3]
                                        ; implicit-def: $vgpr10
.LBB10_15:
	s_andn2_saveexec_b64 s[6:7], s[6:7]
	s_cbranch_execz .LBB10_21
; %bb.16:
	v_and_b32_e32 v2, 0x7fffffff, v10
	s_mov_b32 s8, 0x42000000
	v_div_scale_f32 v3, s[2:3], v2, v2, s8
	v_rcp_f32_e32 v5, v3
	v_div_scale_f32 v2, vcc, s8, v2, s8
	s_mov_b32 s2, 0x3fb8aa3b
	v_fma_f32 v6, -v3, v5, 1.0
	v_fmac_f32_e32 v5, v6, v5
	v_mul_f32_e32 v6, v2, v5
	v_fma_f32 v13, -v3, v6, v2
	v_fmac_f32_e32 v6, v13, v5
	v_fma_f32 v2, -v3, v6, v2
	v_div_fmas_f32 v2, v2, v5, v6
	v_div_fixup_f32 v2, v2, |v10|, s8
	v_add_f32_e32 v2, -2.0, v2
	v_mov_b32_e32 v3, 0x22a2dc57
	v_fmac_f32_e32 v3, 0x230aab6e, v2
	v_fmaak_f32 v5, v2, v3, 0xa30aab6e
	v_add_f32_e32 v5, 0xa456751e, v5
	v_fma_f32 v3, v2, v5, -v3
	v_add_f32_e32 v3, 0xa4140365, v3
	v_fma_f32 v5, v2, v3, -v5
	;; [unrolled: 2-line block ×17, first 2 shown]
	v_add_f32_e32 v3, 0xb2e20a9d, v3
	v_mul_f32_e64 v6, |v10|, s2
	v_fma_f32 v5, v2, v3, -v5
	v_rndne_f32_e32 v13, v6
	v_add_f32_e32 v5, 0xb486dfe9, v5
	v_sub_f32_e32 v14, v6, v13
	v_fma_f32 v6, |v10|, s2, -v6
	s_mov_b32 s2, 0x32a5705f
	v_fma_f32 v3, v2, v5, -v3
	v_fma_f32 v6, |v10|, s2, v6
	v_add_f32_e32 v3, 0xb68246fa, v3
	v_add_f32_e32 v6, v14, v6
	v_fma_f32 v5, v2, v3, -v5
	v_exp_f32_e32 v6, v6
	v_cvt_i32_f32_e32 v13, v13
	v_add_f32_e32 v5, 0xb8e7ebfc, v5
	v_fma_f32 v3, v2, v5, -v3
	v_add_f32_e32 v3, 0xbc1fed03, v3
	s_mov_b32 s2, 0xc2ce8ed0
	v_fma_f32 v2, v2, v3, -v5
	v_ldexp_f32 v3, v6, v13
	v_cmp_nlt_f32_e64 s[2:3], |v10|, s2
	v_add_f32_e32 v2, 0x3f4750c6, v2
	v_mov_b32_e32 v6, 0x7f800000
	v_cndmask_b32_e64 v3, 0, v3, s[2:3]
	s_mov_b32 s2, 0x42b17218
	v_cmp_ngt_f32_e64 s[2:3], |v10|, s2
	v_cmp_ngt_f32_e32 vcc, 0, v10
	v_sub_f32_e32 v5, v2, v5
	v_cndmask_b32_e64 v3, v6, v3, s[2:3]
                                        ; implicit-def: $vgpr2
	s_and_saveexec_b64 s[2:3], vcc
	s_xor_b64 s[8:9], exec, s[2:3]
	s_cbranch_execz .LBB10_18
; %bb.17:
	s_mov_b32 s2, 0xf800000
	s_mov_b32 s3, 0x4f800000
	v_mul_f32_e64 v2, |v10|, s3
	v_cmp_lt_f32_e64 vcc, |v10|, s2
	v_mul_f32_e32 v5, 0.5, v5
	v_mul_f32_e32 v3, v3, v5
	v_cndmask_b32_e64 v2, |v10|, v2, vcc
	v_sqrt_f32_e32 v6, v2
	s_nop 0
	v_add_u32_e32 v5, -1, v6
	v_fma_f32 v10, -v5, v6, v2
	v_cmp_ge_f32_e64 s[2:3], 0, v10
	v_add_u32_e32 v10, 1, v6
	s_nop 0
	v_cndmask_b32_e64 v5, v6, v5, s[2:3]
	v_fma_f32 v6, -v10, v6, v2
	v_cmp_lt_f32_e64 s[2:3], 0, v6
	s_nop 1
	v_cndmask_b32_e64 v5, v5, v10, s[2:3]
	v_mul_f32_e32 v6, 0x37800000, v5
	v_cndmask_b32_e32 v5, v5, v6, vcc
	v_mov_b32_e32 v6, 0x260
	v_cmp_class_f32_e32 vcc, v2, v6
	s_nop 1
	v_cndmask_b32_e32 v2, v5, v2, vcc
	v_div_scale_f32 v5, s[2:3], v2, v2, v3
	v_rcp_f32_e32 v6, v5
	s_nop 0
	v_fma_f32 v10, -v5, v6, 1.0
	v_fmac_f32_e32 v6, v10, v6
	v_div_scale_f32 v10, vcc, v3, v2, v3
	v_mul_f32_e32 v13, v10, v6
	v_fma_f32 v14, -v5, v13, v10
	v_fmac_f32_e32 v13, v14, v6
	v_fma_f32 v5, -v5, v13, v10
	v_div_fmas_f32 v5, v5, v6, v13
	v_div_fixup_f32 v2, v5, v2, v3
                                        ; implicit-def: $vgpr10
                                        ; implicit-def: $vgpr5
                                        ; implicit-def: $vgpr3
.LBB10_18:
	s_andn2_saveexec_b64 s[8:9], s[8:9]
	s_cbranch_execz .LBB10_20
; %bb.19:
	s_mov_b32 s2, 0xf800000
	s_mov_b32 s3, 0x4f800000
	v_mul_f32_e64 v2, |v10|, s3
	v_cmp_lt_f32_e64 vcc, |v10|, s2
	v_mul_f32_e32 v5, -0.5, v5
	v_mul_f32_e32 v3, v3, v5
	v_cndmask_b32_e64 v2, |v10|, v2, vcc
	v_sqrt_f32_e32 v6, v2
	s_nop 0
	v_add_u32_e32 v10, -1, v6
	v_fma_f32 v13, -v10, v6, v2
	v_cmp_ge_f32_e64 s[2:3], 0, v13
	v_add_u32_e32 v13, 1, v6
	s_nop 0
	v_cndmask_b32_e64 v10, v6, v10, s[2:3]
	v_fma_f32 v6, -v13, v6, v2
	v_cmp_lt_f32_e64 s[2:3], 0, v6
	s_nop 1
	v_cndmask_b32_e64 v6, v10, v13, s[2:3]
	v_mul_f32_e32 v10, 0x37800000, v6
	v_cndmask_b32_e32 v6, v6, v10, vcc
	v_mov_b32_e32 v10, 0x260
	v_cmp_class_f32_e32 vcc, v2, v10
	s_nop 1
	v_cndmask_b32_e32 v2, v6, v2, vcc
	v_div_scale_f32 v5, s[2:3], v2, v2, v3
	v_rcp_f32_e32 v6, v5
	s_nop 0
	v_fma_f32 v10, -v5, v6, 1.0
	v_fmac_f32_e32 v6, v10, v6
	v_div_scale_f32 v10, vcc, v3, v2, v3
	v_mul_f32_e32 v13, v10, v6
	v_fma_f32 v14, -v5, v13, v10
	v_fmac_f32_e32 v13, v14, v6
	v_fma_f32 v5, -v5, v13, v10
	v_div_fmas_f32 v5, v5, v6, v13
	v_div_fixup_f32 v2, v5, v2, v3
.LBB10_20:
	s_or_b64 exec, exec, s[8:9]
.LBB10_21:
	s_or_b64 exec, exec, s[6:7]
	v_mov_b32_e32 v5, 0
	v_mov_b32_e32 v6, v5
	v_mov_b32_e32 v3, v5
.LBB10_22:
	s_or_b64 exec, exec, s[4:5]
	s_waitcnt vmcnt(0) lgkmcnt(0)
	v_add_u32_e32 v10, 0x100, v7
	v_cmp_lt_i32_e32 vcc, v10, v4
	s_and_saveexec_b64 s[4:5], vcc
	s_cbranch_execz .LBB10_36
; %bb.23:
	s_mov_b32 s2, 0x41000000
	v_cmp_le_f32_e64 s[2:3], |v12|, s2
	s_and_saveexec_b64 s[6:7], s[2:3]
	s_xor_b64 s[6:7], exec, s[6:7]
                                        ; implicit-def: $vgpr5
	s_cbranch_execz .LBB10_29
; %bb.24:
	v_fma_f32 v5, |v12|, 0.5, -2.0
	v_mov_b32_e32 v13, 0xa3c2be86
	v_fmac_f32_e32 v13, 0x224cf950, v5
	v_fmaak_f32 v14, v5, v13, 0xa24cf950
	v_add_f32_e32 v14, 0x25331f1f, v14
	v_fma_f32 v13, v5, v14, -v13
	v_add_f32_e32 v13, 0xa69f5554, v13
	v_fma_f32 v14, v5, v13, -v14
	;; [unrolled: 2-line block ×25, first 2 shown]
	v_add_f32_e32 v13, 0xbe34a688, v13
	s_mov_b32 s2, 0x3fb8aa3b
	v_fma_f32 v5, v5, v13, -v14
	v_mul_f32_e64 v13, |v12|, s2
	v_rndne_f32_e32 v15, v13
	v_sub_f32_e32 v16, v13, v15
	v_fma_f32 v13, |v12|, s2, -v13
	s_mov_b32 s2, 0x32a5705f
	v_fma_f32 v13, |v12|, s2, v13
	v_add_f32_e32 v13, v16, v13
	v_exp_f32_e32 v16, v13
	v_cvt_i32_f32_e32 v15, v15
	v_add_f32_e32 v5, 0x3e81531c, v5
	v_sub_f32_e32 v5, v5, v14
	v_mul_f32_e32 v5, 0.5, v5
	s_mov_b32 s2, 0xc2ce8ed0
	v_mul_f32_e64 v13, |v12|, v5
	v_ldexp_f32 v5, v16, v15
	v_cmp_nlt_f32_e64 s[2:3], |v12|, s2
	v_mov_b32_e32 v14, 0x7f800000
	v_cmp_ngt_f32_e32 vcc, 0, v12
	v_cndmask_b32_e64 v5, 0, v5, s[2:3]
	s_mov_b32 s2, 0x42b17218
	v_cmp_ngt_f32_e64 s[2:3], |v12|, s2
	s_nop 1
	v_cndmask_b32_e64 v12, v14, v5, s[2:3]
	s_and_saveexec_b64 s[2:3], vcc
	s_xor_b64 s[2:3], exec, s[2:3]
                                        ; implicit-def: $vgpr5
; %bb.25:
	v_mul_f32_e32 v5, v12, v13
                                        ; implicit-def: $vgpr12
                                        ; implicit-def: $vgpr13
; %bb.26:
	s_andn2_saveexec_b64 s[2:3], s[2:3]
; %bb.27:
	v_mul_f32_e64 v5, v13, -v12
; %bb.28:
	s_or_b64 exec, exec, s[2:3]
                                        ; implicit-def: $vgpr12
.LBB10_29:
	s_andn2_saveexec_b64 s[6:7], s[6:7]
	s_cbranch_execz .LBB10_35
; %bb.30:
	v_and_b32_e32 v5, 0x7fffffff, v12
	s_mov_b32 s8, 0x42000000
	v_div_scale_f32 v13, s[2:3], v5, v5, s8
	v_rcp_f32_e32 v14, v13
	v_div_scale_f32 v5, vcc, s8, v5, s8
	s_mov_b32 s2, 0x3fb8aa3b
	v_fma_f32 v15, -v13, v14, 1.0
	v_fmac_f32_e32 v14, v15, v14
	v_mul_f32_e32 v15, v5, v14
	v_fma_f32 v16, -v13, v15, v5
	v_fmac_f32_e32 v15, v16, v14
	v_fma_f32 v5, -v13, v15, v5
	v_div_fmas_f32 v5, v5, v14, v15
	v_div_fixup_f32 v5, v5, |v12|, s8
	v_add_f32_e32 v5, -2.0, v5
	v_mov_b32_e32 v13, 0x22a2dc57
	v_fmac_f32_e32 v13, 0x230aab6e, v5
	v_fmaak_f32 v14, v5, v13, 0xa30aab6e
	v_add_f32_e32 v14, 0xa456751e, v14
	v_fma_f32 v13, v5, v14, -v13
	v_add_f32_e32 v13, 0xa4140365, v13
	v_fma_f32 v14, v5, v13, -v14
	v_add_f32_e32 v14, 0x25aac8b0, v14
	v_fma_f32 v13, v5, v14, -v13
	v_add_f32_e32 v13, 0x25beb473, v13
	v_fma_f32 v14, v5, v13, -v14
	v_add_f32_e32 v14, 0xa7077e6c, v14
	v_fma_f32 v13, v5, v14, -v13
	v_add_f32_e32 v13, 0xa7896da9, v13
	v_fma_f32 v14, v5, v13, -v14
	v_add_f32_e32 v14, 0x283bb70c, v14
	v_fma_f32 v13, v5, v14, -v13
	v_add_f32_e32 v13, 0x294069e1, v13
	v_fma_f32 v14, v5, v13, -v14
	v_add_f32_e32 v14, 0xa8bd4a41, v14
	v_fma_f32 v13, v5, v14, -v13
	v_add_f32_e32 v13, 0xaae5e22c, v13
	v_fma_f32 v14, v5, v13, -v14
	v_add_f32_e32 v14, 0xab4a9f08, v14
	v_fma_f32 v13, v5, v14, -v13
	v_add_f32_e32 v13, 0x2c0f3ea0, v13
	v_fma_f32 v14, v5, v13, -v14
	v_add_f32_e32 v14, 0x2d7880fb, v14
	v_fma_f32 v13, v5, v14, -v13
	v_add_f32_e32 v13, 0x2e0f0d10, v13
	v_fma_f32 v14, v5, v13, -v14
	v_add_f32_e32 v14, 0xada6e7cf, v14
	v_fma_f32 v13, v5, v14, -v13
	v_add_f32_e32 v13, 0xb019a653, v13
	v_fma_f32 v14, v5, v13, -v14
	v_add_f32_e32 v14, 0xb183c85d, v14
	v_fma_f32 v13, v5, v14, -v13
	v_add_f32_e32 v13, 0xb2e20a9d, v13
	v_mul_f32_e64 v15, |v12|, s2
	v_fma_f32 v14, v5, v13, -v14
	v_rndne_f32_e32 v16, v15
	v_add_f32_e32 v14, 0xb486dfe9, v14
	v_sub_f32_e32 v17, v15, v16
	v_fma_f32 v15, |v12|, s2, -v15
	s_mov_b32 s2, 0x32a5705f
	v_fma_f32 v13, v5, v14, -v13
	v_fma_f32 v15, |v12|, s2, v15
	v_add_f32_e32 v13, 0xb68246fa, v13
	v_add_f32_e32 v15, v17, v15
	v_fma_f32 v14, v5, v13, -v14
	v_exp_f32_e32 v15, v15
	v_cvt_i32_f32_e32 v16, v16
	v_add_f32_e32 v14, 0xb8e7ebfc, v14
	v_fma_f32 v13, v5, v14, -v13
	v_add_f32_e32 v13, 0xbc1fed03, v13
	s_mov_b32 s2, 0xc2ce8ed0
	v_fma_f32 v5, v5, v13, -v14
	v_ldexp_f32 v13, v15, v16
	v_cmp_nlt_f32_e64 s[2:3], |v12|, s2
	v_add_f32_e32 v5, 0x3f4750c6, v5
	v_mov_b32_e32 v15, 0x7f800000
	v_cndmask_b32_e64 v13, 0, v13, s[2:3]
	s_mov_b32 s2, 0x42b17218
	v_cmp_ngt_f32_e64 s[2:3], |v12|, s2
	v_cmp_ngt_f32_e32 vcc, 0, v12
	v_sub_f32_e32 v14, v5, v14
	v_cndmask_b32_e64 v13, v15, v13, s[2:3]
	s_and_saveexec_b64 s[2:3], vcc
	s_xor_b64 s[8:9], exec, s[2:3]
                                        ; implicit-def: $vgpr5
	s_cbranch_execz .LBB10_32
; %bb.31:
	s_mov_b32 s2, 0xf800000
	s_mov_b32 s3, 0x4f800000
	v_mul_f32_e64 v5, |v12|, s3
	v_cmp_lt_f32_e64 vcc, |v12|, s2
	v_mul_f32_e32 v14, 0.5, v14
	v_mul_f32_e32 v13, v13, v14
	v_cndmask_b32_e64 v5, |v12|, v5, vcc
	v_sqrt_f32_e32 v12, v5
	s_nop 0
	v_add_u32_e32 v14, -1, v12
	v_fma_f32 v15, -v14, v12, v5
	v_cmp_ge_f32_e64 s[2:3], 0, v15
	v_add_u32_e32 v15, 1, v12
	s_nop 0
	v_cndmask_b32_e64 v14, v12, v14, s[2:3]
	v_fma_f32 v12, -v15, v12, v5
	v_cmp_lt_f32_e64 s[2:3], 0, v12
	s_nop 1
	v_cndmask_b32_e64 v12, v14, v15, s[2:3]
	v_mul_f32_e32 v14, 0x37800000, v12
	v_cndmask_b32_e32 v12, v12, v14, vcc
	v_mov_b32_e32 v14, 0x260
	v_cmp_class_f32_e32 vcc, v5, v14
	s_nop 1
	v_cndmask_b32_e32 v5, v12, v5, vcc
	v_div_scale_f32 v12, s[2:3], v5, v5, v13
	v_rcp_f32_e32 v14, v12
	s_nop 0
	v_fma_f32 v15, -v12, v14, 1.0
	v_fmac_f32_e32 v14, v15, v14
	v_div_scale_f32 v15, vcc, v13, v5, v13
	v_mul_f32_e32 v16, v15, v14
	v_fma_f32 v17, -v12, v16, v15
	v_fmac_f32_e32 v16, v17, v14
	v_fma_f32 v12, -v12, v16, v15
	v_div_fmas_f32 v12, v12, v14, v16
	v_div_fixup_f32 v5, v12, v5, v13
                                        ; implicit-def: $vgpr12
                                        ; implicit-def: $vgpr14
                                        ; implicit-def: $vgpr13
.LBB10_32:
	s_andn2_saveexec_b64 s[8:9], s[8:9]
	s_cbranch_execz .LBB10_34
; %bb.33:
	s_mov_b32 s2, 0xf800000
	s_mov_b32 s3, 0x4f800000
	v_mul_f32_e64 v5, |v12|, s3
	v_cmp_lt_f32_e64 vcc, |v12|, s2
	s_nop 1
	v_cndmask_b32_e64 v5, |v12|, v5, vcc
	v_sqrt_f32_e32 v12, v5
	s_nop 0
	v_add_u32_e32 v15, -1, v12
	v_fma_f32 v16, -v15, v12, v5
	v_cmp_ge_f32_e64 s[2:3], 0, v16
	v_add_u32_e32 v16, 1, v12
	s_nop 0
	v_cndmask_b32_e64 v15, v12, v15, s[2:3]
	v_fma_f32 v12, -v16, v12, v5
	v_cmp_lt_f32_e64 s[2:3], 0, v12
	s_nop 1
	v_cndmask_b32_e64 v12, v15, v16, s[2:3]
	v_mul_f32_e32 v15, 0x37800000, v12
	v_cndmask_b32_e32 v12, v12, v15, vcc
	v_mov_b32_e32 v15, 0x260
	v_cmp_class_f32_e32 vcc, v5, v15
	s_nop 1
	v_cndmask_b32_e32 v5, v12, v5, vcc
	v_mul_f32_e32 v12, -0.5, v14
	v_mul_f32_e32 v12, v13, v12
	v_div_scale_f32 v13, s[2:3], v5, v5, v12
	v_rcp_f32_e32 v14, v13
	s_nop 0
	v_fma_f32 v15, -v13, v14, 1.0
	v_fmac_f32_e32 v14, v15, v14
	v_div_scale_f32 v15, vcc, v12, v5, v12
	v_mul_f32_e32 v16, v15, v14
	v_fma_f32 v17, -v13, v16, v15
	v_fmac_f32_e32 v16, v17, v14
	v_fma_f32 v13, -v13, v16, v15
	v_div_fmas_f32 v13, v13, v14, v16
	v_div_fixup_f32 v5, v13, v5, v12
.LBB10_34:
	s_or_b64 exec, exec, s[8:9]
.LBB10_35:
	s_or_b64 exec, exec, s[6:7]
.LBB10_36:
	s_or_b64 exec, exec, s[4:5]
	v_add_u32_e32 v12, 0x200, v7
	v_cmp_lt_i32_e32 vcc, v12, v4
	s_and_saveexec_b64 s[4:5], vcc
	s_cbranch_execz .LBB10_50
; %bb.37:
	s_mov_b32 s2, 0x41000000
	v_cmp_le_f32_e64 s[2:3], |v11|, s2
	s_and_saveexec_b64 s[6:7], s[2:3]
	s_xor_b64 s[6:7], exec, s[6:7]
                                        ; implicit-def: $vgpr6
	s_cbranch_execz .LBB10_43
; %bb.38:
	v_fma_f32 v6, |v11|, 0.5, -2.0
	v_mov_b32_e32 v12, 0xa3c2be86
	v_fmac_f32_e32 v12, 0x224cf950, v6
	v_fmaak_f32 v13, v6, v12, 0xa24cf950
	v_add_f32_e32 v13, 0x25331f1f, v13
	v_fma_f32 v12, v6, v13, -v12
	v_add_f32_e32 v12, 0xa69f5554, v12
	v_fma_f32 v13, v6, v12, -v13
	v_add_f32_e32 v13, 0x2808ebf8, v13
	v_fma_f32 v12, v6, v13, -v12
	v_add_f32_e32 v12, 0xa9631471, v12
	v_fma_f32 v13, v6, v12, -v13
	v_add_f32_e32 v13, 0x2ab57bc2, v13
	v_fma_f32 v12, v6, v13, -v12
	v_add_f32_e32 v12, 0xac0b9c1b, v12
	v_fma_f32 v13, v6, v12, -v13
	v_add_f32_e32 v13, 0x2d4e7716, v13
	v_fma_f32 v12, v6, v13, -v12
	v_add_f32_e32 v12, 0xae92881d, v12
	v_fma_f32 v13, v6, v12, -v13
	v_add_f32_e32 v13, 0x2fc751a6, v13
	v_fma_f32 v12, v6, v13, -v12
	v_add_f32_e32 v12, 0xb101b0d9, v12
	v_fma_f32 v13, v6, v12, -v13
	v_add_f32_e32 v13, 0x32212c70, v13
	v_fma_f32 v12, v6, v13, -v12
	v_add_f32_e32 v12, 0xb33ee9f1, v12
	v_fma_f32 v13, v6, v12, -v13
	v_add_f32_e32 v13, 0x34571a26, v13
	v_fma_f32 v12, v6, v13, -v12
	v_add_f32_e32 v12, 0xb56603cc, v12
	v_fma_f32 v13, v6, v12, -v13
	v_add_f32_e32 v13, 0x3668e277, v13
	v_fma_f32 v12, v6, v13, -v12
	v_add_f32_e32 v12, 0xb75eafce, v12
	v_fma_f32 v13, v6, v12, -v13
	v_add_f32_e32 v13, 0x38488daa, v13
	v_fma_f32 v12, v6, v13, -v12
	v_add_f32_e32 v12, 0xb9299e57, v12
	v_fma_f32 v13, v6, v12, -v13
	v_add_f32_e32 v13, 0x3a064aee, v13
	v_fma_f32 v12, v6, v13, -v12
	v_add_f32_e32 v12, 0xbac66310, v12
	v_fma_f32 v13, v6, v12, -v13
	v_add_f32_e32 v13, 0x3b88329a, v13
	v_fma_f32 v12, v6, v13, -v12
	v_add_f32_e32 v12, 0xbc2d14fc, v12
	v_fma_f32 v13, v6, v12, -v13
	v_add_f32_e32 v13, 0x3cca8f1f, v13
	v_fma_f32 v12, v6, v13, -v12
	v_add_f32_e32 v12, 0xbd58dde3, v12
	v_fma_f32 v13, v6, v12, -v13
	v_add_f32_e32 v13, 0x3dd236d7, v13
	v_fma_f32 v12, v6, v13, -v12
	v_add_f32_e32 v12, 0xbe34a688, v12
	s_mov_b32 s2, 0x3fb8aa3b
	v_fma_f32 v6, v6, v12, -v13
	v_mul_f32_e64 v12, |v11|, s2
	v_rndne_f32_e32 v14, v12
	v_sub_f32_e32 v15, v12, v14
	v_fma_f32 v12, |v11|, s2, -v12
	s_mov_b32 s2, 0x32a5705f
	v_fma_f32 v12, |v11|, s2, v12
	v_add_f32_e32 v12, v15, v12
	v_exp_f32_e32 v15, v12
	v_cvt_i32_f32_e32 v14, v14
	v_add_f32_e32 v6, 0x3e81531c, v6
	v_sub_f32_e32 v6, v6, v13
	v_mul_f32_e32 v6, 0.5, v6
	s_mov_b32 s2, 0xc2ce8ed0
	v_mul_f32_e64 v12, |v11|, v6
	v_ldexp_f32 v6, v15, v14
	v_cmp_nlt_f32_e64 s[2:3], |v11|, s2
	v_mov_b32_e32 v13, 0x7f800000
	v_cmp_ngt_f32_e32 vcc, 0, v11
	v_cndmask_b32_e64 v6, 0, v6, s[2:3]
	s_mov_b32 s2, 0x42b17218
	v_cmp_ngt_f32_e64 s[2:3], |v11|, s2
	s_nop 1
	v_cndmask_b32_e64 v11, v13, v6, s[2:3]
	s_and_saveexec_b64 s[2:3], vcc
	s_xor_b64 s[2:3], exec, s[2:3]
                                        ; implicit-def: $vgpr6
; %bb.39:
	v_mul_f32_e32 v6, v11, v12
                                        ; implicit-def: $vgpr11
                                        ; implicit-def: $vgpr12
; %bb.40:
	s_andn2_saveexec_b64 s[2:3], s[2:3]
; %bb.41:
	v_mul_f32_e64 v6, v12, -v11
; %bb.42:
	s_or_b64 exec, exec, s[2:3]
                                        ; implicit-def: $vgpr11
.LBB10_43:
	s_andn2_saveexec_b64 s[6:7], s[6:7]
	s_cbranch_execz .LBB10_49
; %bb.44:
	v_and_b32_e32 v6, 0x7fffffff, v11
	s_mov_b32 s8, 0x42000000
	v_div_scale_f32 v12, s[2:3], v6, v6, s8
	v_rcp_f32_e32 v13, v12
	v_div_scale_f32 v6, vcc, s8, v6, s8
	s_mov_b32 s2, 0x3fb8aa3b
	v_fma_f32 v14, -v12, v13, 1.0
	v_fmac_f32_e32 v13, v14, v13
	v_mul_f32_e32 v14, v6, v13
	v_fma_f32 v15, -v12, v14, v6
	v_fmac_f32_e32 v14, v15, v13
	v_fma_f32 v6, -v12, v14, v6
	v_div_fmas_f32 v6, v6, v13, v14
	v_div_fixup_f32 v6, v6, |v11|, s8
	v_add_f32_e32 v6, -2.0, v6
	v_mov_b32_e32 v12, 0x22a2dc57
	v_fmac_f32_e32 v12, 0x230aab6e, v6
	v_fmaak_f32 v13, v6, v12, 0xa30aab6e
	v_add_f32_e32 v13, 0xa456751e, v13
	v_fma_f32 v12, v6, v13, -v12
	v_add_f32_e32 v12, 0xa4140365, v12
	v_fma_f32 v13, v6, v12, -v13
	;; [unrolled: 2-line block ×17, first 2 shown]
	v_add_f32_e32 v12, 0xb2e20a9d, v12
	v_mul_f32_e64 v14, |v11|, s2
	v_fma_f32 v13, v6, v12, -v13
	v_rndne_f32_e32 v15, v14
	v_add_f32_e32 v13, 0xb486dfe9, v13
	v_sub_f32_e32 v16, v14, v15
	v_fma_f32 v14, |v11|, s2, -v14
	s_mov_b32 s2, 0x32a5705f
	v_fma_f32 v12, v6, v13, -v12
	v_fma_f32 v14, |v11|, s2, v14
	v_add_f32_e32 v12, 0xb68246fa, v12
	v_add_f32_e32 v14, v16, v14
	v_fma_f32 v13, v6, v12, -v13
	v_exp_f32_e32 v14, v14
	v_cvt_i32_f32_e32 v15, v15
	v_add_f32_e32 v13, 0xb8e7ebfc, v13
	v_fma_f32 v12, v6, v13, -v12
	v_add_f32_e32 v12, 0xbc1fed03, v12
	s_mov_b32 s2, 0xc2ce8ed0
	v_fma_f32 v6, v6, v12, -v13
	v_ldexp_f32 v12, v14, v15
	v_cmp_nlt_f32_e64 s[2:3], |v11|, s2
	v_add_f32_e32 v6, 0x3f4750c6, v6
	v_mov_b32_e32 v14, 0x7f800000
	v_cndmask_b32_e64 v12, 0, v12, s[2:3]
	s_mov_b32 s2, 0x42b17218
	v_cmp_ngt_f32_e64 s[2:3], |v11|, s2
	v_cmp_ngt_f32_e32 vcc, 0, v11
	v_sub_f32_e32 v13, v6, v13
	v_cndmask_b32_e64 v12, v14, v12, s[2:3]
	s_and_saveexec_b64 s[2:3], vcc
	s_xor_b64 s[8:9], exec, s[2:3]
                                        ; implicit-def: $vgpr6
	s_cbranch_execz .LBB10_46
; %bb.45:
	s_mov_b32 s2, 0xf800000
	s_mov_b32 s3, 0x4f800000
	v_mul_f32_e64 v6, |v11|, s3
	v_cmp_lt_f32_e64 vcc, |v11|, s2
	v_mul_f32_e32 v13, 0.5, v13
	v_mul_f32_e32 v12, v12, v13
	v_cndmask_b32_e64 v6, |v11|, v6, vcc
	v_sqrt_f32_e32 v11, v6
	s_nop 0
	v_add_u32_e32 v13, -1, v11
	v_fma_f32 v14, -v13, v11, v6
	v_cmp_ge_f32_e64 s[2:3], 0, v14
	v_add_u32_e32 v14, 1, v11
	s_nop 0
	v_cndmask_b32_e64 v13, v11, v13, s[2:3]
	v_fma_f32 v11, -v14, v11, v6
	v_cmp_lt_f32_e64 s[2:3], 0, v11
	s_nop 1
	v_cndmask_b32_e64 v11, v13, v14, s[2:3]
	v_mul_f32_e32 v13, 0x37800000, v11
	v_cndmask_b32_e32 v11, v11, v13, vcc
	v_mov_b32_e32 v13, 0x260
	v_cmp_class_f32_e32 vcc, v6, v13
	s_nop 1
	v_cndmask_b32_e32 v6, v11, v6, vcc
	v_div_scale_f32 v11, s[2:3], v6, v6, v12
	v_rcp_f32_e32 v13, v11
	s_nop 0
	v_fma_f32 v14, -v11, v13, 1.0
	v_fmac_f32_e32 v13, v14, v13
	v_div_scale_f32 v14, vcc, v12, v6, v12
	v_mul_f32_e32 v15, v14, v13
	v_fma_f32 v16, -v11, v15, v14
	v_fmac_f32_e32 v15, v16, v13
	v_fma_f32 v11, -v11, v15, v14
	v_div_fmas_f32 v11, v11, v13, v15
	v_div_fixup_f32 v6, v11, v6, v12
                                        ; implicit-def: $vgpr11
                                        ; implicit-def: $vgpr13
                                        ; implicit-def: $vgpr12
.LBB10_46:
	s_andn2_saveexec_b64 s[8:9], s[8:9]
	s_cbranch_execz .LBB10_48
; %bb.47:
	s_mov_b32 s2, 0xf800000
	s_mov_b32 s3, 0x4f800000
	v_mul_f32_e64 v6, |v11|, s3
	v_cmp_lt_f32_e64 vcc, |v11|, s2
	s_nop 1
	v_cndmask_b32_e64 v6, |v11|, v6, vcc
	v_sqrt_f32_e32 v11, v6
	s_nop 0
	v_add_u32_e32 v14, -1, v11
	v_fma_f32 v15, -v14, v11, v6
	v_cmp_ge_f32_e64 s[2:3], 0, v15
	v_add_u32_e32 v15, 1, v11
	s_nop 0
	v_cndmask_b32_e64 v14, v11, v14, s[2:3]
	v_fma_f32 v11, -v15, v11, v6
	v_cmp_lt_f32_e64 s[2:3], 0, v11
	s_nop 1
	v_cndmask_b32_e64 v11, v14, v15, s[2:3]
	v_mul_f32_e32 v14, 0x37800000, v11
	v_cndmask_b32_e32 v11, v11, v14, vcc
	v_mov_b32_e32 v14, 0x260
	v_cmp_class_f32_e32 vcc, v6, v14
	s_nop 1
	v_cndmask_b32_e32 v6, v11, v6, vcc
	v_mul_f32_e32 v11, -0.5, v13
	v_mul_f32_e32 v11, v12, v11
	v_div_scale_f32 v12, s[2:3], v6, v6, v11
	v_rcp_f32_e32 v13, v12
	s_nop 0
	v_fma_f32 v14, -v12, v13, 1.0
	v_fmac_f32_e32 v13, v14, v13
	v_div_scale_f32 v14, vcc, v11, v6, v11
	v_mul_f32_e32 v15, v14, v13
	v_fma_f32 v16, -v12, v15, v14
	v_fmac_f32_e32 v15, v16, v13
	v_fma_f32 v12, -v12, v15, v14
	v_div_fmas_f32 v12, v12, v13, v15
	v_div_fixup_f32 v6, v12, v6, v11
.LBB10_48:
	s_or_b64 exec, exec, s[8:9]
.LBB10_49:
	s_or_b64 exec, exec, s[6:7]
.LBB10_50:
	s_or_b64 exec, exec, s[4:5]
	v_add_u32_e32 v11, 0x300, v7
	v_cmp_lt_i32_e32 vcc, v11, v4
	s_and_saveexec_b64 s[4:5], vcc
	s_cbranch_execnz .LBB10_56
; %bb.51:
	s_or_b64 exec, exec, s[4:5]
	s_and_saveexec_b64 s[2:3], s[0:1]
	s_xor_b64 s[0:1], exec, s[2:3]
	s_cbranch_execnz .LBB10_69
.LBB10_52:
	s_or_b64 exec, exec, s[0:1]
	v_cmp_lt_i32_e32 vcc, v7, v4
	s_and_saveexec_b64 s[0:1], vcc
	s_cbranch_execnz .LBB10_70
.LBB10_53:
	s_or_b64 exec, exec, s[0:1]
	v_cmp_lt_i32_e32 vcc, v7, v4
	s_and_saveexec_b64 s[0:1], vcc
	s_cbranch_execnz .LBB10_71
.LBB10_54:
	s_or_b64 exec, exec, s[0:1]
	v_cmp_lt_i32_e32 vcc, v7, v4
	s_and_saveexec_b64 s[0:1], vcc
	s_cbranch_execnz .LBB10_72
.LBB10_55:
	s_or_b64 exec, exec, s[0:1]
	s_waitcnt vmcnt(0) lgkmcnt(0)
	s_setpc_b64 s[30:31]
.LBB10_56:
	s_mov_b32 s2, 0x41000000
	v_cmp_le_f32_e64 s[2:3], |v9|, s2
	s_and_saveexec_b64 s[6:7], s[2:3]
	s_xor_b64 s[6:7], exec, s[6:7]
                                        ; implicit-def: $vgpr3
	s_cbranch_execz .LBB10_62
; %bb.57:
	v_fma_f32 v3, |v9|, 0.5, -2.0
	v_mov_b32_e32 v11, 0xa3c2be86
	v_fmac_f32_e32 v11, 0x224cf950, v3
	v_fmaak_f32 v12, v3, v11, 0xa24cf950
	v_add_f32_e32 v12, 0x25331f1f, v12
	v_fma_f32 v11, v3, v12, -v11
	v_add_f32_e32 v11, 0xa69f5554, v11
	v_fma_f32 v12, v3, v11, -v12
	;; [unrolled: 2-line block ×25, first 2 shown]
	v_add_f32_e32 v11, 0xbe34a688, v11
	s_mov_b32 s2, 0x3fb8aa3b
	v_fma_f32 v3, v3, v11, -v12
	v_mul_f32_e64 v11, |v9|, s2
	v_rndne_f32_e32 v13, v11
	v_sub_f32_e32 v14, v11, v13
	v_fma_f32 v11, |v9|, s2, -v11
	s_mov_b32 s2, 0x32a5705f
	v_fma_f32 v11, |v9|, s2, v11
	v_add_f32_e32 v11, v14, v11
	v_exp_f32_e32 v14, v11
	v_cvt_i32_f32_e32 v13, v13
	v_add_f32_e32 v3, 0x3e81531c, v3
	v_sub_f32_e32 v3, v3, v12
	v_mul_f32_e32 v3, 0.5, v3
	s_mov_b32 s2, 0xc2ce8ed0
	v_mul_f32_e64 v11, |v9|, v3
	v_ldexp_f32 v3, v14, v13
	v_cmp_nlt_f32_e64 s[2:3], |v9|, s2
	v_mov_b32_e32 v12, 0x7f800000
	v_cmp_ngt_f32_e32 vcc, 0, v9
	v_cndmask_b32_e64 v3, 0, v3, s[2:3]
	s_mov_b32 s2, 0x42b17218
	v_cmp_ngt_f32_e64 s[2:3], |v9|, s2
	s_nop 1
	v_cndmask_b32_e64 v9, v12, v3, s[2:3]
	s_and_saveexec_b64 s[2:3], vcc
	s_xor_b64 s[2:3], exec, s[2:3]
                                        ; implicit-def: $vgpr3
; %bb.58:
	v_mul_f32_e32 v3, v9, v11
                                        ; implicit-def: $vgpr9
                                        ; implicit-def: $vgpr11
; %bb.59:
	s_andn2_saveexec_b64 s[2:3], s[2:3]
; %bb.60:
	v_mul_f32_e64 v3, v11, -v9
; %bb.61:
	s_or_b64 exec, exec, s[2:3]
                                        ; implicit-def: $vgpr9
.LBB10_62:
	s_andn2_saveexec_b64 s[6:7], s[6:7]
	s_cbranch_execz .LBB10_68
; %bb.63:
	v_and_b32_e32 v3, 0x7fffffff, v9
	s_mov_b32 s8, 0x42000000
	v_div_scale_f32 v11, s[2:3], v3, v3, s8
	v_rcp_f32_e32 v12, v11
	v_div_scale_f32 v3, vcc, s8, v3, s8
	s_mov_b32 s2, 0x3fb8aa3b
	v_fma_f32 v13, -v11, v12, 1.0
	v_fmac_f32_e32 v12, v13, v12
	v_mul_f32_e32 v13, v3, v12
	v_fma_f32 v14, -v11, v13, v3
	v_fmac_f32_e32 v13, v14, v12
	v_fma_f32 v3, -v11, v13, v3
	v_div_fmas_f32 v3, v3, v12, v13
	v_div_fixup_f32 v3, v3, |v9|, s8
	v_add_f32_e32 v3, -2.0, v3
	v_mov_b32_e32 v11, 0x22a2dc57
	v_fmac_f32_e32 v11, 0x230aab6e, v3
	v_fmaak_f32 v12, v3, v11, 0xa30aab6e
	v_add_f32_e32 v12, 0xa456751e, v12
	v_fma_f32 v11, v3, v12, -v11
	v_add_f32_e32 v11, 0xa4140365, v11
	v_fma_f32 v12, v3, v11, -v12
	;; [unrolled: 2-line block ×17, first 2 shown]
	v_add_f32_e32 v11, 0xb2e20a9d, v11
	v_mul_f32_e64 v13, |v9|, s2
	v_fma_f32 v12, v3, v11, -v12
	v_rndne_f32_e32 v14, v13
	v_add_f32_e32 v12, 0xb486dfe9, v12
	v_sub_f32_e32 v15, v13, v14
	v_fma_f32 v13, |v9|, s2, -v13
	s_mov_b32 s2, 0x32a5705f
	v_fma_f32 v11, v3, v12, -v11
	v_fma_f32 v13, |v9|, s2, v13
	v_add_f32_e32 v11, 0xb68246fa, v11
	v_add_f32_e32 v13, v15, v13
	v_fma_f32 v12, v3, v11, -v12
	v_exp_f32_e32 v13, v13
	v_cvt_i32_f32_e32 v14, v14
	v_add_f32_e32 v12, 0xb8e7ebfc, v12
	v_fma_f32 v11, v3, v12, -v11
	v_add_f32_e32 v11, 0xbc1fed03, v11
	s_mov_b32 s2, 0xc2ce8ed0
	v_fma_f32 v3, v3, v11, -v12
	v_ldexp_f32 v11, v13, v14
	v_cmp_nlt_f32_e64 s[2:3], |v9|, s2
	v_add_f32_e32 v3, 0x3f4750c6, v3
	v_mov_b32_e32 v13, 0x7f800000
	v_cndmask_b32_e64 v11, 0, v11, s[2:3]
	s_mov_b32 s2, 0x42b17218
	v_cmp_ngt_f32_e64 s[2:3], |v9|, s2
	v_cmp_ngt_f32_e32 vcc, 0, v9
	v_sub_f32_e32 v12, v3, v12
	v_cndmask_b32_e64 v11, v13, v11, s[2:3]
	s_and_saveexec_b64 s[2:3], vcc
	s_xor_b64 s[8:9], exec, s[2:3]
                                        ; implicit-def: $vgpr3
	s_cbranch_execz .LBB10_65
; %bb.64:
	s_mov_b32 s2, 0xf800000
	s_mov_b32 s3, 0x4f800000
	v_mul_f32_e64 v3, |v9|, s3
	v_cmp_lt_f32_e64 vcc, |v9|, s2
	v_mul_f32_e32 v12, 0.5, v12
	v_mul_f32_e32 v11, v11, v12
	v_cndmask_b32_e64 v3, |v9|, v3, vcc
	v_sqrt_f32_e32 v9, v3
	s_nop 0
	v_add_u32_e32 v12, -1, v9
	v_fma_f32 v13, -v12, v9, v3
	v_cmp_ge_f32_e64 s[2:3], 0, v13
	v_add_u32_e32 v13, 1, v9
	s_nop 0
	v_cndmask_b32_e64 v12, v9, v12, s[2:3]
	v_fma_f32 v9, -v13, v9, v3
	v_cmp_lt_f32_e64 s[2:3], 0, v9
	s_nop 1
	v_cndmask_b32_e64 v9, v12, v13, s[2:3]
	v_mul_f32_e32 v12, 0x37800000, v9
	v_cndmask_b32_e32 v9, v9, v12, vcc
	v_mov_b32_e32 v12, 0x260
	v_cmp_class_f32_e32 vcc, v3, v12
	s_nop 1
	v_cndmask_b32_e32 v3, v9, v3, vcc
	v_div_scale_f32 v9, s[2:3], v3, v3, v11
	v_rcp_f32_e32 v12, v9
	s_nop 0
	v_fma_f32 v13, -v9, v12, 1.0
	v_fmac_f32_e32 v12, v13, v12
	v_div_scale_f32 v13, vcc, v11, v3, v11
	v_mul_f32_e32 v14, v13, v12
	v_fma_f32 v15, -v9, v14, v13
	v_fmac_f32_e32 v14, v15, v12
	v_fma_f32 v9, -v9, v14, v13
	v_div_fmas_f32 v9, v9, v12, v14
	v_div_fixup_f32 v3, v9, v3, v11
                                        ; implicit-def: $vgpr9
                                        ; implicit-def: $vgpr12
                                        ; implicit-def: $vgpr11
.LBB10_65:
	s_andn2_saveexec_b64 s[8:9], s[8:9]
	s_cbranch_execz .LBB10_67
; %bb.66:
	s_mov_b32 s2, 0xf800000
	s_mov_b32 s3, 0x4f800000
	v_mul_f32_e64 v3, |v9|, s3
	v_cmp_lt_f32_e64 vcc, |v9|, s2
	s_nop 1
	v_cndmask_b32_e64 v3, |v9|, v3, vcc
	v_sqrt_f32_e32 v9, v3
	s_nop 0
	v_add_u32_e32 v13, -1, v9
	v_fma_f32 v14, -v13, v9, v3
	v_cmp_ge_f32_e64 s[2:3], 0, v14
	v_add_u32_e32 v14, 1, v9
	s_nop 0
	v_cndmask_b32_e64 v13, v9, v13, s[2:3]
	v_fma_f32 v9, -v14, v9, v3
	v_cmp_lt_f32_e64 s[2:3], 0, v9
	s_nop 1
	v_cndmask_b32_e64 v9, v13, v14, s[2:3]
	v_mul_f32_e32 v13, 0x37800000, v9
	v_cndmask_b32_e32 v9, v9, v13, vcc
	v_mov_b32_e32 v13, 0x260
	v_cmp_class_f32_e32 vcc, v3, v13
	s_nop 1
	v_cndmask_b32_e32 v3, v9, v3, vcc
	v_mul_f32_e32 v9, -0.5, v12
	v_mul_f32_e32 v9, v11, v9
	v_div_scale_f32 v11, s[2:3], v3, v3, v9
	v_rcp_f32_e32 v12, v11
	s_nop 0
	v_fma_f32 v13, -v11, v12, 1.0
	v_fmac_f32_e32 v12, v13, v12
	v_div_scale_f32 v13, vcc, v9, v3, v9
	v_mul_f32_e32 v14, v13, v12
	v_fma_f32 v15, -v11, v14, v13
	v_fmac_f32_e32 v14, v15, v12
	v_fma_f32 v11, -v11, v14, v13
	v_div_fmas_f32 v11, v11, v12, v14
	v_div_fixup_f32 v3, v11, v3, v9
.LBB10_67:
	s_or_b64 exec, exec, s[8:9]
.LBB10_68:
	s_or_b64 exec, exec, s[6:7]
	s_or_b64 exec, exec, s[4:5]
	s_and_saveexec_b64 s[2:3], s[0:1]
	s_xor_b64 s[0:1], exec, s[2:3]
	s_cbranch_execz .LBB10_52
.LBB10_69:
	v_mov_b32_e32 v9, 0
	v_lshl_add_u64 v[8:9], v[8:9], 2, v[0:1]
	v_mov_b32_e32 v7, v10
	flat_store_dword v[8:9], v2
	s_or_b64 exec, exec, s[0:1]
	v_cmp_lt_i32_e32 vcc, v7, v4
	s_and_saveexec_b64 s[0:1], vcc
	s_cbranch_execz .LBB10_53
.LBB10_70:
	v_add_u32_e32 v8, s10, v7
	v_mov_b32_e32 v9, 0
	v_lshl_add_u64 v[8:9], v[8:9], 2, v[0:1]
	v_add_u32_e32 v7, 0x100, v7
	flat_store_dword v[8:9], v5
	s_or_b64 exec, exec, s[0:1]
	v_cmp_lt_i32_e32 vcc, v7, v4
	s_and_saveexec_b64 s[0:1], vcc
	s_cbranch_execz .LBB10_54
.LBB10_71:
	v_add_u32_e32 v8, s10, v7
	v_mov_b32_e32 v9, 0
	v_lshl_add_u64 v[8:9], v[8:9], 2, v[0:1]
	v_add_u32_e32 v7, 0x100, v7
	flat_store_dword v[8:9], v6
	s_or_b64 exec, exec, s[0:1]
	v_cmp_lt_i32_e32 vcc, v7, v4
	s_and_saveexec_b64 s[0:1], vcc
	s_cbranch_execz .LBB10_55
.LBB10_72:
	v_add_u32_e32 v4, s10, v7
	v_mov_b32_e32 v5, 0
	v_lshl_add_u64 v[0:1], v[4:5], 2, v[0:1]
	flat_store_dword v[0:1], v3
	s_or_b64 exec, exec, s[0:1]
	s_waitcnt vmcnt(0) lgkmcnt(0)
	s_setpc_b64 s[30:31]
.Lfunc_end10:
	.size	_ZN2at6native25elementwise_kernel_helperILb0EZZZNS0_12_GLOBAL__N_130modified_bessel_i1_kernel_cudaERNS_18TensorIteratorBaseEENKUlvE_clEvENKUlvE0_clEvEUlfE_NS0_6memory8policies11unroll_baseILi256ESt5arrayIPcLm2EE23TrivialOffsetCalculatorILi1EjESF_NS8_15LoadWithoutCastENS8_16StoreWithoutCastELi4ELi1EEEEEvT0_T1_, .Lfunc_end10-_ZN2at6native25elementwise_kernel_helperILb0EZZZNS0_12_GLOBAL__N_130modified_bessel_i1_kernel_cudaERNS_18TensorIteratorBaseEENKUlvE_clEvENKUlvE0_clEvEUlfE_NS0_6memory8policies11unroll_baseILi256ESt5arrayIPcLm2EE23TrivialOffsetCalculatorILi1EjESF_NS8_15LoadWithoutCastENS8_16StoreWithoutCastELi4ELi1EEEEEvT0_T1_
                                        ; -- End function
	.set .L_ZN2at6native25elementwise_kernel_helperILb0EZZZNS0_12_GLOBAL__N_130modified_bessel_i1_kernel_cudaERNS_18TensorIteratorBaseEENKUlvE_clEvENKUlvE0_clEvEUlfE_NS0_6memory8policies11unroll_baseILi256ESt5arrayIPcLm2EE23TrivialOffsetCalculatorILi1EjESF_NS8_15LoadWithoutCastENS8_16StoreWithoutCastELi4ELi1EEEEEvT0_T1_.num_vgpr, 32
	.set .L_ZN2at6native25elementwise_kernel_helperILb0EZZZNS0_12_GLOBAL__N_130modified_bessel_i1_kernel_cudaERNS_18TensorIteratorBaseEENKUlvE_clEvENKUlvE0_clEvEUlfE_NS0_6memory8policies11unroll_baseILi256ESt5arrayIPcLm2EE23TrivialOffsetCalculatorILi1EjESF_NS8_15LoadWithoutCastENS8_16StoreWithoutCastELi4ELi1EEEEEvT0_T1_.num_agpr, 0
	.set .L_ZN2at6native25elementwise_kernel_helperILb0EZZZNS0_12_GLOBAL__N_130modified_bessel_i1_kernel_cudaERNS_18TensorIteratorBaseEENKUlvE_clEvENKUlvE0_clEvEUlfE_NS0_6memory8policies11unroll_baseILi256ESt5arrayIPcLm2EE23TrivialOffsetCalculatorILi1EjESF_NS8_15LoadWithoutCastENS8_16StoreWithoutCastELi4ELi1EEEEEvT0_T1_.numbered_sgpr, 32
	.set .L_ZN2at6native25elementwise_kernel_helperILb0EZZZNS0_12_GLOBAL__N_130modified_bessel_i1_kernel_cudaERNS_18TensorIteratorBaseEENKUlvE_clEvENKUlvE0_clEvEUlfE_NS0_6memory8policies11unroll_baseILi256ESt5arrayIPcLm2EE23TrivialOffsetCalculatorILi1EjESF_NS8_15LoadWithoutCastENS8_16StoreWithoutCastELi4ELi1EEEEEvT0_T1_.num_named_barrier, 0
	.set .L_ZN2at6native25elementwise_kernel_helperILb0EZZZNS0_12_GLOBAL__N_130modified_bessel_i1_kernel_cudaERNS_18TensorIteratorBaseEENKUlvE_clEvENKUlvE0_clEvEUlfE_NS0_6memory8policies11unroll_baseILi256ESt5arrayIPcLm2EE23TrivialOffsetCalculatorILi1EjESF_NS8_15LoadWithoutCastENS8_16StoreWithoutCastELi4ELi1EEEEEvT0_T1_.private_seg_size, 0
	.set .L_ZN2at6native25elementwise_kernel_helperILb0EZZZNS0_12_GLOBAL__N_130modified_bessel_i1_kernel_cudaERNS_18TensorIteratorBaseEENKUlvE_clEvENKUlvE0_clEvEUlfE_NS0_6memory8policies11unroll_baseILi256ESt5arrayIPcLm2EE23TrivialOffsetCalculatorILi1EjESF_NS8_15LoadWithoutCastENS8_16StoreWithoutCastELi4ELi1EEEEEvT0_T1_.uses_vcc, 1
	.set .L_ZN2at6native25elementwise_kernel_helperILb0EZZZNS0_12_GLOBAL__N_130modified_bessel_i1_kernel_cudaERNS_18TensorIteratorBaseEENKUlvE_clEvENKUlvE0_clEvEUlfE_NS0_6memory8policies11unroll_baseILi256ESt5arrayIPcLm2EE23TrivialOffsetCalculatorILi1EjESF_NS8_15LoadWithoutCastENS8_16StoreWithoutCastELi4ELi1EEEEEvT0_T1_.uses_flat_scratch, 0
	.set .L_ZN2at6native25elementwise_kernel_helperILb0EZZZNS0_12_GLOBAL__N_130modified_bessel_i1_kernel_cudaERNS_18TensorIteratorBaseEENKUlvE_clEvENKUlvE0_clEvEUlfE_NS0_6memory8policies11unroll_baseILi256ESt5arrayIPcLm2EE23TrivialOffsetCalculatorILi1EjESF_NS8_15LoadWithoutCastENS8_16StoreWithoutCastELi4ELi1EEEEEvT0_T1_.has_dyn_sized_stack, 0
	.set .L_ZN2at6native25elementwise_kernel_helperILb0EZZZNS0_12_GLOBAL__N_130modified_bessel_i1_kernel_cudaERNS_18TensorIteratorBaseEENKUlvE_clEvENKUlvE0_clEvEUlfE_NS0_6memory8policies11unroll_baseILi256ESt5arrayIPcLm2EE23TrivialOffsetCalculatorILi1EjESF_NS8_15LoadWithoutCastENS8_16StoreWithoutCastELi4ELi1EEEEEvT0_T1_.has_recursion, 0
	.set .L_ZN2at6native25elementwise_kernel_helperILb0EZZZNS0_12_GLOBAL__N_130modified_bessel_i1_kernel_cudaERNS_18TensorIteratorBaseEENKUlvE_clEvENKUlvE0_clEvEUlfE_NS0_6memory8policies11unroll_baseILi256ESt5arrayIPcLm2EE23TrivialOffsetCalculatorILi1EjESF_NS8_15LoadWithoutCastENS8_16StoreWithoutCastELi4ELi1EEEEEvT0_T1_.has_indirect_call, 0
	.section	.AMDGPU.csdata,"",@progbits
; Function info:
; codeLenInByte = 7656
; TotalNumSgprs: 38
; NumVgprs: 32
; NumAgprs: 0
; TotalNumVgprs: 32
; ScratchSize: 0
; MemoryBound: 0
	.text
	.p2align	2                               ; -- Begin function _ZN2at6native25elementwise_kernel_helperILb0EZZZNS0_12_GLOBAL__N_130modified_bessel_i1_kernel_cudaERNS_18TensorIteratorBaseEENKUlvE_clEvENKUlvE0_clEvEUlfE_NS0_6memory8policies10vectorizedILi4ESt5arrayIPcLm2EELi4EEEEEvT0_T1_
	.type	_ZN2at6native25elementwise_kernel_helperILb0EZZZNS0_12_GLOBAL__N_130modified_bessel_i1_kernel_cudaERNS_18TensorIteratorBaseEENKUlvE_clEvENKUlvE0_clEvEUlfE_NS0_6memory8policies10vectorizedILi4ESt5arrayIPcLm2EELi4EEEEEvT0_T1_,@function
_ZN2at6native25elementwise_kernel_helperILb0EZZZNS0_12_GLOBAL__N_130modified_bessel_i1_kernel_cudaERNS_18TensorIteratorBaseEENKUlvE_clEvENKUlvE0_clEvEUlfE_NS0_6memory8policies10vectorizedILi4ESt5arrayIPcLm2EELi4EEEEEvT0_T1_: ; @_ZN2at6native25elementwise_kernel_helperILb0EZZZNS0_12_GLOBAL__N_130modified_bessel_i1_kernel_cudaERNS_18TensorIteratorBaseEENKUlvE_clEvENKUlvE0_clEvEUlfE_NS0_6memory8policies10vectorizedILi4ESt5arrayIPcLm2EELi4EEEEEvT0_T1_
; %bb.0:
	s_waitcnt vmcnt(0) expcnt(0) lgkmcnt(0)
	s_lshl_b32 s2, s12, 10
	s_ashr_i32 s3, s2, 31
	v_and_b32_e32 v4, 0x3ff, v31
	v_lshl_add_u64 v[2:3], s[2:3], 2, v[2:3]
	v_mov_b32_e32 v11, 0
	v_lshlrev_b32_e32 v10, 4, v4
	v_lshl_add_u64 v[2:3], v[2:3], 0, v[10:11]
	flat_load_dwordx4 v[2:5], v[2:3]
	s_mov_b32 s0, 0x41000000
                                        ; implicit-def: $vgpr6
	s_waitcnt vmcnt(0) lgkmcnt(0)
	v_cmp_le_f32_e64 s[0:1], |v2|, s0
	s_and_saveexec_b64 s[4:5], s[0:1]
	s_xor_b64 s[4:5], exec, s[4:5]
	s_cbranch_execz .LBB11_6
; %bb.1:
	v_fma_f32 v6, |v2|, 0.5, -2.0
	v_mov_b32_e32 v7, 0xa3c2be86
	v_fmac_f32_e32 v7, 0x224cf950, v6
	v_fmaak_f32 v8, v6, v7, 0xa24cf950
	v_add_f32_e32 v8, 0x25331f1f, v8
	v_fma_f32 v7, v6, v8, -v7
	v_add_f32_e32 v7, 0xa69f5554, v7
	v_fma_f32 v8, v6, v7, -v8
	;; [unrolled: 2-line block ×25, first 2 shown]
	v_add_f32_e32 v7, 0xbe34a688, v7
	s_mov_b32 s0, 0x3fb8aa3b
	v_fma_f32 v6, v6, v7, -v8
	v_mul_f32_e64 v7, |v2|, s0
	v_rndne_f32_e32 v9, v7
	v_sub_f32_e32 v11, v7, v9
	v_fma_f32 v7, |v2|, s0, -v7
	s_mov_b32 s0, 0x32a5705f
	v_fma_f32 v7, |v2|, s0, v7
	v_add_f32_e32 v7, v11, v7
	v_exp_f32_e32 v11, v7
	v_cvt_i32_f32_e32 v9, v9
	v_add_f32_e32 v6, 0x3e81531c, v6
	v_sub_f32_e32 v6, v6, v8
	v_mul_f32_e32 v6, 0.5, v6
	s_mov_b32 s0, 0xc2ce8ed0
	v_mul_f32_e64 v7, |v2|, v6
	v_ldexp_f32 v6, v11, v9
	v_cmp_nlt_f32_e64 s[0:1], |v2|, s0
	v_mov_b32_e32 v8, 0x7f800000
	v_cmp_ngt_f32_e32 vcc, 0, v2
	v_cndmask_b32_e64 v6, 0, v6, s[0:1]
	s_mov_b32 s0, 0x42b17218
	v_cmp_ngt_f32_e64 s[0:1], |v2|, s0
	s_nop 1
	v_cndmask_b32_e64 v8, v8, v6, s[0:1]
                                        ; implicit-def: $vgpr6
	s_and_saveexec_b64 s[0:1], vcc
	s_xor_b64 s[0:1], exec, s[0:1]
; %bb.2:
	v_mul_f32_e32 v6, v8, v7
                                        ; implicit-def: $vgpr8
                                        ; implicit-def: $vgpr7
; %bb.3:
	s_andn2_saveexec_b64 s[0:1], s[0:1]
; %bb.4:
	v_mul_f32_e64 v6, v7, -v8
; %bb.5:
	s_or_b64 exec, exec, s[0:1]
.LBB11_6:
	s_andn2_saveexec_b64 s[4:5], s[4:5]
	s_cbranch_execz .LBB11_12
; %bb.7:
	v_and_b32_e32 v6, 0x7fffffff, v2
	s_mov_b32 s6, 0x42000000
	v_div_scale_f32 v7, s[0:1], v6, v6, s6
	v_rcp_f32_e32 v8, v7
	v_div_scale_f32 v6, vcc, s6, v6, s6
	s_mov_b32 s0, 0x3fb8aa3b
	v_fma_f32 v9, -v7, v8, 1.0
	v_fmac_f32_e32 v8, v9, v8
	v_mul_f32_e32 v9, v6, v8
	v_fma_f32 v11, -v7, v9, v6
	v_fmac_f32_e32 v9, v11, v8
	v_fma_f32 v6, -v7, v9, v6
	v_div_fmas_f32 v6, v6, v8, v9
	v_div_fixup_f32 v6, v6, |v2|, s6
	v_add_f32_e32 v6, -2.0, v6
	v_mov_b32_e32 v7, 0x22a2dc57
	v_fmac_f32_e32 v7, 0x230aab6e, v6
	v_fmaak_f32 v8, v6, v7, 0xa30aab6e
	v_add_f32_e32 v8, 0xa456751e, v8
	v_fma_f32 v7, v6, v8, -v7
	v_add_f32_e32 v7, 0xa4140365, v7
	v_fma_f32 v8, v6, v7, -v8
	;; [unrolled: 2-line block ×17, first 2 shown]
	v_add_f32_e32 v7, 0xb2e20a9d, v7
	v_mul_f32_e64 v9, |v2|, s0
	v_fma_f32 v8, v6, v7, -v8
	v_rndne_f32_e32 v11, v9
	v_add_f32_e32 v8, 0xb486dfe9, v8
	v_sub_f32_e32 v12, v9, v11
	v_fma_f32 v9, |v2|, s0, -v9
	s_mov_b32 s0, 0x32a5705f
	v_fma_f32 v7, v6, v8, -v7
	v_fma_f32 v9, |v2|, s0, v9
	v_add_f32_e32 v7, 0xb68246fa, v7
	v_add_f32_e32 v9, v12, v9
	v_fma_f32 v8, v6, v7, -v8
	v_exp_f32_e32 v9, v9
	v_cvt_i32_f32_e32 v11, v11
	v_add_f32_e32 v8, 0xb8e7ebfc, v8
	v_fma_f32 v7, v6, v8, -v7
	v_add_f32_e32 v7, 0xbc1fed03, v7
	s_mov_b32 s0, 0xc2ce8ed0
	v_fma_f32 v6, v6, v7, -v8
	v_ldexp_f32 v7, v9, v11
	v_cmp_nlt_f32_e64 s[0:1], |v2|, s0
	v_add_f32_e32 v6, 0x3f4750c6, v6
	v_mov_b32_e32 v9, 0x7f800000
	v_cndmask_b32_e64 v7, 0, v7, s[0:1]
	s_mov_b32 s0, 0x42b17218
	v_cmp_ngt_f32_e64 s[0:1], |v2|, s0
	v_cmp_ngt_f32_e32 vcc, 0, v2
	v_sub_f32_e32 v8, v6, v8
	v_cndmask_b32_e64 v7, v9, v7, s[0:1]
                                        ; implicit-def: $vgpr6
	s_and_saveexec_b64 s[0:1], vcc
	s_xor_b64 s[6:7], exec, s[0:1]
	s_cbranch_execz .LBB11_9
; %bb.8:
	s_mov_b32 s0, 0xf800000
	s_mov_b32 s1, 0x4f800000
	v_mul_f32_e64 v6, |v2|, s1
	v_cmp_lt_f32_e64 vcc, |v2|, s0
	v_mul_f32_e32 v8, 0.5, v8
	v_mul_f32_e32 v7, v7, v8
	v_cndmask_b32_e64 v6, |v2|, v6, vcc
	v_sqrt_f32_e32 v9, v6
	s_nop 0
	v_add_u32_e32 v8, -1, v9
	v_fma_f32 v11, -v8, v9, v6
	v_cmp_ge_f32_e64 s[0:1], 0, v11
	v_add_u32_e32 v11, 1, v9
	s_nop 0
	v_cndmask_b32_e64 v8, v9, v8, s[0:1]
	v_fma_f32 v9, -v11, v9, v6
	v_cmp_lt_f32_e64 s[0:1], 0, v9
	s_nop 1
	v_cndmask_b32_e64 v8, v8, v11, s[0:1]
	v_mul_f32_e32 v9, 0x37800000, v8
	v_cndmask_b32_e32 v8, v8, v9, vcc
	v_mov_b32_e32 v9, 0x260
	v_cmp_class_f32_e32 vcc, v6, v9
	s_nop 1
	v_cndmask_b32_e32 v6, v8, v6, vcc
	v_div_scale_f32 v8, s[0:1], v6, v6, v7
	v_rcp_f32_e32 v9, v8
	s_nop 0
	v_fma_f32 v11, -v8, v9, 1.0
	v_fmac_f32_e32 v9, v11, v9
	v_div_scale_f32 v11, vcc, v7, v6, v7
	v_mul_f32_e32 v12, v11, v9
	v_fma_f32 v13, -v8, v12, v11
	v_fmac_f32_e32 v12, v13, v9
	v_fma_f32 v8, -v8, v12, v11
	v_div_fmas_f32 v8, v8, v9, v12
	v_div_fixup_f32 v6, v8, v6, v7
                                        ; implicit-def: $vgpr8
                                        ; implicit-def: $vgpr7
.LBB11_9:
	s_andn2_saveexec_b64 s[6:7], s[6:7]
	s_cbranch_execz .LBB11_11
; %bb.10:
	s_mov_b32 s0, 0xf800000
	s_mov_b32 s1, 0x4f800000
	v_mul_f32_e64 v6, |v2|, s1
	v_cmp_lt_f32_e64 vcc, |v2|, s0
	s_nop 1
	v_cndmask_b32_e64 v2, |v2|, v6, vcc
	v_sqrt_f32_e32 v6, v2
	s_nop 0
	v_add_u32_e32 v9, -1, v6
	v_fma_f32 v11, -v9, v6, v2
	v_cmp_ge_f32_e64 s[0:1], 0, v11
	v_add_u32_e32 v11, 1, v6
	s_nop 0
	v_cndmask_b32_e64 v9, v6, v9, s[0:1]
	v_fma_f32 v6, -v11, v6, v2
	v_cmp_lt_f32_e64 s[0:1], 0, v6
	s_nop 1
	v_cndmask_b32_e64 v6, v9, v11, s[0:1]
	v_mul_f32_e32 v9, 0x37800000, v6
	v_cndmask_b32_e32 v6, v6, v9, vcc
	v_mov_b32_e32 v9, 0x260
	v_cmp_class_f32_e32 vcc, v2, v9
	s_nop 1
	v_cndmask_b32_e32 v2, v6, v2, vcc
	v_mul_f32_e32 v6, -0.5, v8
	v_mul_f32_e32 v6, v7, v6
	v_div_scale_f32 v7, s[0:1], v2, v2, v6
	v_rcp_f32_e32 v8, v7
	s_nop 0
	v_fma_f32 v9, -v7, v8, 1.0
	v_fmac_f32_e32 v8, v9, v8
	v_div_scale_f32 v9, vcc, v6, v2, v6
	v_mul_f32_e32 v11, v9, v8
	v_fma_f32 v12, -v7, v11, v9
	v_fmac_f32_e32 v11, v12, v8
	v_fma_f32 v7, -v7, v11, v9
	v_div_fmas_f32 v7, v7, v8, v11
	v_div_fixup_f32 v6, v7, v2, v6
.LBB11_11:
	s_or_b64 exec, exec, s[6:7]
.LBB11_12:
	s_or_b64 exec, exec, s[4:5]
	s_mov_b32 s0, 0x41000000
	v_cmp_le_f32_e64 s[0:1], |v3|, s0
	s_and_saveexec_b64 s[4:5], s[0:1]
	s_xor_b64 s[4:5], exec, s[4:5]
	s_cbranch_execz .LBB11_18
; %bb.13:
	v_fma_f32 v2, |v3|, 0.5, -2.0
	v_mov_b32_e32 v7, 0xa3c2be86
	v_fmac_f32_e32 v7, 0x224cf950, v2
	v_fmaak_f32 v8, v2, v7, 0xa24cf950
	v_add_f32_e32 v8, 0x25331f1f, v8
	v_fma_f32 v7, v2, v8, -v7
	v_add_f32_e32 v7, 0xa69f5554, v7
	v_fma_f32 v8, v2, v7, -v8
	;; [unrolled: 2-line block ×25, first 2 shown]
	v_add_f32_e32 v7, 0xbe34a688, v7
	s_mov_b32 s0, 0x3fb8aa3b
	v_fma_f32 v2, v2, v7, -v8
	v_mul_f32_e64 v7, |v3|, s0
	v_rndne_f32_e32 v9, v7
	v_sub_f32_e32 v11, v7, v9
	v_fma_f32 v7, |v3|, s0, -v7
	s_mov_b32 s0, 0x32a5705f
	v_fma_f32 v7, |v3|, s0, v7
	v_add_f32_e32 v7, v11, v7
	v_exp_f32_e32 v7, v7
	v_cvt_i32_f32_e32 v9, v9
	s_mov_b32 s0, 0xc2ce8ed0
	v_add_f32_e32 v2, 0x3e81531c, v2
	v_cmp_nlt_f32_e64 s[0:1], |v3|, s0
	v_ldexp_f32 v7, v7, v9
	v_sub_f32_e32 v2, v2, v8
	v_cndmask_b32_e64 v7, 0, v7, s[0:1]
	s_mov_b32 s0, 0x42b17218
	v_mul_f32_e32 v2, 0.5, v2
	v_mov_b32_e32 v8, 0x7f800000
	v_cmp_ngt_f32_e64 s[0:1], |v3|, s0
	v_cmp_ngt_f32_e32 vcc, 0, v3
	v_mul_f32_e64 v2, |v3|, v2
	v_cndmask_b32_e64 v8, v8, v7, s[0:1]
	s_and_saveexec_b64 s[0:1], vcc
	s_xor_b64 s[0:1], exec, s[0:1]
; %bb.14:
	v_mul_f32_e32 v7, v8, v2
                                        ; implicit-def: $vgpr8
                                        ; implicit-def: $vgpr2
; %bb.15:
	s_andn2_saveexec_b64 s[0:1], s[0:1]
; %bb.16:
	v_mul_f32_e64 v7, v2, -v8
; %bb.17:
	s_or_b64 exec, exec, s[0:1]
.LBB11_18:
	s_andn2_saveexec_b64 s[4:5], s[4:5]
	s_cbranch_execz .LBB11_24
; %bb.19:
	v_and_b32_e32 v2, 0x7fffffff, v3
	s_mov_b32 s6, 0x42000000
	v_div_scale_f32 v7, s[0:1], v2, v2, s6
	v_rcp_f32_e32 v8, v7
	v_div_scale_f32 v2, vcc, s6, v2, s6
	s_mov_b32 s0, 0x3fb8aa3b
	v_fma_f32 v9, -v7, v8, 1.0
	v_fmac_f32_e32 v8, v9, v8
	v_mul_f32_e32 v9, v2, v8
	v_fma_f32 v11, -v7, v9, v2
	v_fmac_f32_e32 v9, v11, v8
	v_fma_f32 v2, -v7, v9, v2
	v_div_fmas_f32 v2, v2, v8, v9
	v_div_fixup_f32 v2, v2, |v3|, s6
	v_add_f32_e32 v2, -2.0, v2
	v_mov_b32_e32 v7, 0x22a2dc57
	v_fmac_f32_e32 v7, 0x230aab6e, v2
	v_fmaak_f32 v8, v2, v7, 0xa30aab6e
	v_add_f32_e32 v8, 0xa456751e, v8
	v_fma_f32 v7, v2, v8, -v7
	v_add_f32_e32 v7, 0xa4140365, v7
	v_fma_f32 v8, v2, v7, -v8
	;; [unrolled: 2-line block ×18, first 2 shown]
	v_mul_f32_e64 v9, |v3|, s0
	v_add_f32_e32 v8, 0xb486dfe9, v8
	v_rndne_f32_e32 v11, v9
	v_fma_f32 v7, v2, v8, -v7
	v_sub_f32_e32 v12, v9, v11
	v_fma_f32 v9, |v3|, s0, -v9
	s_mov_b32 s0, 0x32a5705f
	v_add_f32_e32 v7, 0xb68246fa, v7
	v_fma_f32 v9, |v3|, s0, v9
	v_fma_f32 v8, v2, v7, -v8
	v_add_f32_e32 v9, v12, v9
	v_add_f32_e32 v8, 0xb8e7ebfc, v8
	v_exp_f32_e32 v9, v9
	v_cvt_i32_f32_e32 v11, v11
	v_fma_f32 v7, v2, v8, -v7
	v_add_f32_e32 v7, 0xbc1fed03, v7
	v_fma_f32 v2, v2, v7, -v8
	s_mov_b32 s0, 0xc2ce8ed0
	v_add_f32_e32 v7, 0x3f4750c6, v2
	v_ldexp_f32 v2, v9, v11
	v_cmp_nlt_f32_e64 s[0:1], |v3|, s0
	v_mov_b32_e32 v9, 0x7f800000
	v_cmp_ngt_f32_e32 vcc, 0, v3
	v_cndmask_b32_e64 v2, 0, v2, s[0:1]
	s_mov_b32 s0, 0x42b17218
	v_cmp_ngt_f32_e64 s[0:1], |v3|, s0
	v_sub_f32_e32 v8, v7, v8
	s_nop 0
	v_cndmask_b32_e64 v2, v9, v2, s[0:1]
	s_and_saveexec_b64 s[0:1], vcc
	s_xor_b64 s[6:7], exec, s[0:1]
	s_cbranch_execz .LBB11_21
; %bb.20:
	s_mov_b32 s0, 0xf800000
	s_mov_b32 s1, 0x4f800000
	v_mul_f32_e64 v7, |v3|, s1
	v_cmp_lt_f32_e64 vcc, |v3|, s0
	v_mul_f32_e32 v8, 0.5, v8
	v_mul_f32_e32 v2, v2, v8
	v_cndmask_b32_e64 v7, |v3|, v7, vcc
	v_sqrt_f32_e32 v9, v7
	s_nop 0
	v_add_u32_e32 v8, -1, v9
	v_fma_f32 v11, -v8, v9, v7
	v_cmp_ge_f32_e64 s[0:1], 0, v11
	v_add_u32_e32 v11, 1, v9
	s_nop 0
	v_cndmask_b32_e64 v8, v9, v8, s[0:1]
	v_fma_f32 v9, -v11, v9, v7
	v_cmp_lt_f32_e64 s[0:1], 0, v9
	s_nop 1
	v_cndmask_b32_e64 v8, v8, v11, s[0:1]
	v_mul_f32_e32 v9, 0x37800000, v8
	v_cndmask_b32_e32 v8, v8, v9, vcc
	v_mov_b32_e32 v9, 0x260
	v_cmp_class_f32_e32 vcc, v7, v9
	s_nop 1
	v_cndmask_b32_e32 v7, v8, v7, vcc
	v_div_scale_f32 v8, s[0:1], v7, v7, v2
	v_rcp_f32_e32 v9, v8
	s_nop 0
	v_fma_f32 v11, -v8, v9, 1.0
	v_fmac_f32_e32 v9, v11, v9
	v_div_scale_f32 v11, vcc, v2, v7, v2
	v_mul_f32_e32 v12, v11, v9
	v_fma_f32 v13, -v8, v12, v11
	v_fmac_f32_e32 v12, v13, v9
	v_fma_f32 v8, -v8, v12, v11
	v_div_fmas_f32 v8, v8, v9, v12
	v_div_fixup_f32 v7, v8, v7, v2
                                        ; implicit-def: $vgpr8
                                        ; implicit-def: $vgpr2
.LBB11_21:
	s_andn2_saveexec_b64 s[6:7], s[6:7]
	s_cbranch_execz .LBB11_23
; %bb.22:
	s_mov_b32 s0, 0xf800000
	s_mov_b32 s1, 0x4f800000
	v_mul_f32_e64 v7, |v3|, s1
	v_cmp_lt_f32_e64 vcc, |v3|, s0
	s_nop 1
	v_cndmask_b32_e64 v3, |v3|, v7, vcc
	v_sqrt_f32_e32 v7, v3
	s_nop 0
	v_add_u32_e32 v9, -1, v7
	v_fma_f32 v11, -v9, v7, v3
	v_cmp_ge_f32_e64 s[0:1], 0, v11
	v_add_u32_e32 v11, 1, v7
	s_nop 0
	v_cndmask_b32_e64 v9, v7, v9, s[0:1]
	v_fma_f32 v7, -v11, v7, v3
	v_cmp_lt_f32_e64 s[0:1], 0, v7
	s_nop 1
	v_cndmask_b32_e64 v7, v9, v11, s[0:1]
	v_mul_f32_e32 v9, 0x37800000, v7
	v_cndmask_b32_e32 v7, v7, v9, vcc
	v_mov_b32_e32 v9, 0x260
	v_cmp_class_f32_e32 vcc, v3, v9
	s_nop 1
	v_cndmask_b32_e32 v3, v7, v3, vcc
	v_mul_f32_e32 v7, -0.5, v8
	v_mul_f32_e32 v2, v2, v7
	v_div_scale_f32 v7, s[0:1], v3, v3, v2
	v_rcp_f32_e32 v8, v7
	s_nop 0
	v_fma_f32 v9, -v7, v8, 1.0
	v_fmac_f32_e32 v8, v9, v8
	v_div_scale_f32 v9, vcc, v2, v3, v2
	v_mul_f32_e32 v11, v9, v8
	v_fma_f32 v12, -v7, v11, v9
	v_fmac_f32_e32 v11, v12, v8
	v_fma_f32 v7, -v7, v11, v9
	v_div_fmas_f32 v7, v7, v8, v11
	v_div_fixup_f32 v7, v7, v3, v2
.LBB11_23:
	s_or_b64 exec, exec, s[6:7]
.LBB11_24:
	s_or_b64 exec, exec, s[4:5]
	s_mov_b32 s0, 0x41000000
	v_cmp_le_f32_e64 s[0:1], |v4|, s0
	s_and_saveexec_b64 s[4:5], s[0:1]
	s_xor_b64 s[4:5], exec, s[4:5]
	s_cbranch_execz .LBB11_30
; %bb.25:
	v_fma_f32 v2, |v4|, 0.5, -2.0
	v_mov_b32_e32 v3, 0xa3c2be86
	v_fmac_f32_e32 v3, 0x224cf950, v2
	v_fmaak_f32 v8, v2, v3, 0xa24cf950
	v_add_f32_e32 v8, 0x25331f1f, v8
	v_fma_f32 v3, v2, v8, -v3
	v_add_f32_e32 v3, 0xa69f5554, v3
	v_fma_f32 v8, v2, v3, -v8
	;; [unrolled: 2-line block ×25, first 2 shown]
	v_add_f32_e32 v3, 0xbe34a688, v3
	s_mov_b32 s0, 0x3fb8aa3b
	v_fma_f32 v2, v2, v3, -v8
	v_mul_f32_e64 v3, |v4|, s0
	v_rndne_f32_e32 v9, v3
	v_sub_f32_e32 v11, v3, v9
	v_fma_f32 v3, |v4|, s0, -v3
	s_mov_b32 s0, 0x32a5705f
	v_fma_f32 v3, |v4|, s0, v3
	v_add_f32_e32 v3, v11, v3
	v_exp_f32_e32 v3, v3
	v_cvt_i32_f32_e32 v9, v9
	s_mov_b32 s0, 0xc2ce8ed0
	v_add_f32_e32 v2, 0x3e81531c, v2
	v_cmp_nlt_f32_e64 s[0:1], |v4|, s0
	v_ldexp_f32 v3, v3, v9
	v_sub_f32_e32 v2, v2, v8
	v_cndmask_b32_e64 v3, 0, v3, s[0:1]
	s_mov_b32 s0, 0x42b17218
	v_mul_f32_e32 v2, 0.5, v2
	v_mov_b32_e32 v8, 0x7f800000
	v_cmp_ngt_f32_e64 s[0:1], |v4|, s0
	v_cmp_ngt_f32_e32 vcc, 0, v4
	v_mul_f32_e64 v2, |v4|, v2
	v_cndmask_b32_e64 v3, v8, v3, s[0:1]
	s_and_saveexec_b64 s[0:1], vcc
	s_xor_b64 s[0:1], exec, s[0:1]
; %bb.26:
	v_mul_f32_e32 v8, v3, v2
                                        ; implicit-def: $vgpr3
                                        ; implicit-def: $vgpr2
; %bb.27:
	s_andn2_saveexec_b64 s[0:1], s[0:1]
; %bb.28:
	v_mul_f32_e64 v8, v2, -v3
; %bb.29:
	s_or_b64 exec, exec, s[0:1]
.LBB11_30:
	s_andn2_saveexec_b64 s[4:5], s[4:5]
	s_cbranch_execz .LBB11_36
; %bb.31:
	v_and_b32_e32 v2, 0x7fffffff, v4
	s_mov_b32 s6, 0x42000000
	v_div_scale_f32 v3, s[0:1], v2, v2, s6
	v_rcp_f32_e32 v8, v3
	v_div_scale_f32 v2, vcc, s6, v2, s6
	s_mov_b32 s0, 0x3fb8aa3b
	v_fma_f32 v9, -v3, v8, 1.0
	v_fmac_f32_e32 v8, v9, v8
	v_mul_f32_e32 v9, v2, v8
	v_fma_f32 v11, -v3, v9, v2
	v_fmac_f32_e32 v9, v11, v8
	v_fma_f32 v2, -v3, v9, v2
	v_div_fmas_f32 v2, v2, v8, v9
	v_div_fixup_f32 v2, v2, |v4|, s6
	v_add_f32_e32 v2, -2.0, v2
	v_mov_b32_e32 v3, 0x22a2dc57
	v_fmac_f32_e32 v3, 0x230aab6e, v2
	v_fmaak_f32 v8, v2, v3, 0xa30aab6e
	v_add_f32_e32 v8, 0xa456751e, v8
	v_fma_f32 v3, v2, v8, -v3
	v_add_f32_e32 v3, 0xa4140365, v3
	v_fma_f32 v8, v2, v3, -v8
	;; [unrolled: 2-line block ×18, first 2 shown]
	v_mul_f32_e64 v9, |v4|, s0
	v_add_f32_e32 v8, 0xb486dfe9, v8
	v_rndne_f32_e32 v11, v9
	v_fma_f32 v3, v2, v8, -v3
	v_sub_f32_e32 v12, v9, v11
	v_fma_f32 v9, |v4|, s0, -v9
	s_mov_b32 s0, 0x32a5705f
	v_add_f32_e32 v3, 0xb68246fa, v3
	v_fma_f32 v9, |v4|, s0, v9
	v_fma_f32 v8, v2, v3, -v8
	v_add_f32_e32 v9, v12, v9
	v_add_f32_e32 v8, 0xb8e7ebfc, v8
	v_exp_f32_e32 v9, v9
	v_cvt_i32_f32_e32 v11, v11
	v_fma_f32 v3, v2, v8, -v3
	v_add_f32_e32 v3, 0xbc1fed03, v3
	v_fma_f32 v2, v2, v3, -v8
	s_mov_b32 s0, 0xc2ce8ed0
	v_add_f32_e32 v3, 0x3f4750c6, v2
	v_ldexp_f32 v2, v9, v11
	v_cmp_nlt_f32_e64 s[0:1], |v4|, s0
	v_mov_b32_e32 v9, 0x7f800000
	v_cmp_ngt_f32_e32 vcc, 0, v4
	v_cndmask_b32_e64 v2, 0, v2, s[0:1]
	s_mov_b32 s0, 0x42b17218
	v_cmp_ngt_f32_e64 s[0:1], |v4|, s0
	v_sub_f32_e32 v3, v3, v8
	s_nop 0
	v_cndmask_b32_e64 v2, v9, v2, s[0:1]
	s_and_saveexec_b64 s[0:1], vcc
	s_xor_b64 s[6:7], exec, s[0:1]
	s_cbranch_execz .LBB11_33
; %bb.32:
	s_mov_b32 s0, 0xf800000
	s_mov_b32 s1, 0x4f800000
	v_mul_f32_e64 v8, |v4|, s1
	v_cmp_lt_f32_e64 vcc, |v4|, s0
	v_mul_f32_e32 v3, 0.5, v3
	v_mul_f32_e32 v2, v2, v3
	v_cndmask_b32_e64 v8, |v4|, v8, vcc
	v_sqrt_f32_e32 v9, v8
	s_nop 0
	v_add_u32_e32 v3, -1, v9
	v_fma_f32 v11, -v3, v9, v8
	v_cmp_ge_f32_e64 s[0:1], 0, v11
	v_add_u32_e32 v11, 1, v9
	s_nop 0
	v_cndmask_b32_e64 v3, v9, v3, s[0:1]
	v_fma_f32 v9, -v11, v9, v8
	v_cmp_lt_f32_e64 s[0:1], 0, v9
	s_nop 1
	v_cndmask_b32_e64 v3, v3, v11, s[0:1]
	v_mul_f32_e32 v9, 0x37800000, v3
	v_cndmask_b32_e32 v3, v3, v9, vcc
	v_mov_b32_e32 v9, 0x260
	v_cmp_class_f32_e32 vcc, v8, v9
	s_nop 1
	v_cndmask_b32_e32 v3, v3, v8, vcc
	v_div_scale_f32 v8, s[0:1], v3, v3, v2
	v_rcp_f32_e32 v9, v8
	s_nop 0
	v_fma_f32 v11, -v8, v9, 1.0
	v_fmac_f32_e32 v9, v11, v9
	v_div_scale_f32 v11, vcc, v2, v3, v2
	v_mul_f32_e32 v12, v11, v9
	v_fma_f32 v13, -v8, v12, v11
	v_fmac_f32_e32 v12, v13, v9
	v_fma_f32 v8, -v8, v12, v11
	v_div_fmas_f32 v8, v8, v9, v12
	v_div_fixup_f32 v8, v8, v3, v2
                                        ; implicit-def: $vgpr3
                                        ; implicit-def: $vgpr2
.LBB11_33:
	s_andn2_saveexec_b64 s[6:7], s[6:7]
	s_cbranch_execz .LBB11_35
; %bb.34:
	s_mov_b32 s0, 0xf800000
	s_mov_b32 s1, 0x4f800000
	v_mul_f32_e64 v8, |v4|, s1
	v_cmp_lt_f32_e64 vcc, |v4|, s0
	v_mul_f32_e32 v3, -0.5, v3
	v_mul_f32_e32 v2, v2, v3
	v_cndmask_b32_e64 v4, |v4|, v8, vcc
	v_sqrt_f32_e32 v8, v4
	s_nop 0
	v_add_u32_e32 v9, -1, v8
	v_fma_f32 v11, -v9, v8, v4
	v_cmp_ge_f32_e64 s[0:1], 0, v11
	v_add_u32_e32 v11, 1, v8
	s_nop 0
	v_cndmask_b32_e64 v9, v8, v9, s[0:1]
	v_fma_f32 v8, -v11, v8, v4
	v_cmp_lt_f32_e64 s[0:1], 0, v8
	s_nop 1
	v_cndmask_b32_e64 v8, v9, v11, s[0:1]
	v_mul_f32_e32 v9, 0x37800000, v8
	v_cndmask_b32_e32 v8, v8, v9, vcc
	v_mov_b32_e32 v9, 0x260
	v_cmp_class_f32_e32 vcc, v4, v9
	s_nop 1
	v_cndmask_b32_e32 v4, v8, v4, vcc
	v_div_scale_f32 v3, s[0:1], v4, v4, v2
	v_rcp_f32_e32 v8, v3
	s_nop 0
	v_fma_f32 v9, -v3, v8, 1.0
	v_fmac_f32_e32 v8, v9, v8
	v_div_scale_f32 v9, vcc, v2, v4, v2
	v_mul_f32_e32 v11, v9, v8
	v_fma_f32 v12, -v3, v11, v9
	v_fmac_f32_e32 v11, v12, v8
	v_fma_f32 v3, -v3, v11, v9
	v_div_fmas_f32 v3, v3, v8, v11
	v_div_fixup_f32 v8, v3, v4, v2
.LBB11_35:
	s_or_b64 exec, exec, s[6:7]
.LBB11_36:
	s_or_b64 exec, exec, s[4:5]
	s_mov_b32 s0, 0x41000000
	v_cmp_le_f32_e64 s[0:1], |v5|, s0
	s_and_saveexec_b64 s[4:5], s[0:1]
	s_xor_b64 s[4:5], exec, s[4:5]
	s_cbranch_execz .LBB11_42
; %bb.37:
	v_fma_f32 v2, |v5|, 0.5, -2.0
	v_mov_b32_e32 v3, 0xa3c2be86
	v_fmac_f32_e32 v3, 0x224cf950, v2
	v_fmaak_f32 v4, v2, v3, 0xa24cf950
	v_add_f32_e32 v4, 0x25331f1f, v4
	v_fma_f32 v3, v2, v4, -v3
	v_add_f32_e32 v3, 0xa69f5554, v3
	v_fma_f32 v4, v2, v3, -v4
	v_add_f32_e32 v4, 0x2808ebf8, v4
	v_fma_f32 v3, v2, v4, -v3
	v_add_f32_e32 v3, 0xa9631471, v3
	v_fma_f32 v4, v2, v3, -v4
	v_add_f32_e32 v4, 0x2ab57bc2, v4
	v_fma_f32 v3, v2, v4, -v3
	v_add_f32_e32 v3, 0xac0b9c1b, v3
	v_fma_f32 v4, v2, v3, -v4
	v_add_f32_e32 v4, 0x2d4e7716, v4
	v_fma_f32 v3, v2, v4, -v3
	v_add_f32_e32 v3, 0xae92881d, v3
	v_fma_f32 v4, v2, v3, -v4
	v_add_f32_e32 v4, 0x2fc751a6, v4
	v_fma_f32 v3, v2, v4, -v3
	v_add_f32_e32 v3, 0xb101b0d9, v3
	v_fma_f32 v4, v2, v3, -v4
	v_add_f32_e32 v4, 0x32212c70, v4
	v_fma_f32 v3, v2, v4, -v3
	v_add_f32_e32 v3, 0xb33ee9f1, v3
	v_fma_f32 v4, v2, v3, -v4
	v_add_f32_e32 v4, 0x34571a26, v4
	v_fma_f32 v3, v2, v4, -v3
	v_add_f32_e32 v3, 0xb56603cc, v3
	v_fma_f32 v4, v2, v3, -v4
	v_add_f32_e32 v4, 0x3668e277, v4
	v_fma_f32 v3, v2, v4, -v3
	v_add_f32_e32 v3, 0xb75eafce, v3
	v_fma_f32 v4, v2, v3, -v4
	v_add_f32_e32 v4, 0x38488daa, v4
	v_fma_f32 v3, v2, v4, -v3
	v_add_f32_e32 v3, 0xb9299e57, v3
	v_fma_f32 v4, v2, v3, -v4
	v_add_f32_e32 v4, 0x3a064aee, v4
	v_fma_f32 v3, v2, v4, -v3
	v_add_f32_e32 v3, 0xbac66310, v3
	v_fma_f32 v4, v2, v3, -v4
	v_add_f32_e32 v4, 0x3b88329a, v4
	v_fma_f32 v3, v2, v4, -v3
	v_add_f32_e32 v3, 0xbc2d14fc, v3
	v_fma_f32 v4, v2, v3, -v4
	v_add_f32_e32 v4, 0x3cca8f1f, v4
	v_fma_f32 v3, v2, v4, -v3
	v_add_f32_e32 v3, 0xbd58dde3, v3
	v_fma_f32 v4, v2, v3, -v4
	v_add_f32_e32 v4, 0x3dd236d7, v4
	v_fma_f32 v3, v2, v4, -v3
	v_add_f32_e32 v3, 0xbe34a688, v3
	s_mov_b32 s0, 0x3fb8aa3b
	v_fma_f32 v2, v2, v3, -v4
	v_mul_f32_e64 v3, |v5|, s0
	v_rndne_f32_e32 v9, v3
	v_sub_f32_e32 v11, v3, v9
	v_fma_f32 v3, |v5|, s0, -v3
	s_mov_b32 s0, 0x32a5705f
	v_fma_f32 v3, |v5|, s0, v3
	v_add_f32_e32 v3, v11, v3
	v_exp_f32_e32 v3, v3
	v_cvt_i32_f32_e32 v9, v9
	s_mov_b32 s0, 0xc2ce8ed0
	v_add_f32_e32 v2, 0x3e81531c, v2
	v_cmp_nlt_f32_e64 s[0:1], |v5|, s0
	v_ldexp_f32 v3, v3, v9
	v_sub_f32_e32 v2, v2, v4
	v_cndmask_b32_e64 v3, 0, v3, s[0:1]
	s_mov_b32 s0, 0x42b17218
	v_mul_f32_e32 v2, 0.5, v2
	v_mov_b32_e32 v4, 0x7f800000
	v_cmp_ngt_f32_e64 s[0:1], |v5|, s0
	v_cmp_ngt_f32_e32 vcc, 0, v5
	v_mul_f32_e64 v2, |v5|, v2
	v_cndmask_b32_e64 v3, v4, v3, s[0:1]
	s_and_saveexec_b64 s[0:1], vcc
	s_xor_b64 s[0:1], exec, s[0:1]
; %bb.38:
	v_mul_f32_e32 v9, v3, v2
                                        ; implicit-def: $vgpr3
                                        ; implicit-def: $vgpr2
; %bb.39:
	s_andn2_saveexec_b64 s[0:1], s[0:1]
; %bb.40:
	v_mul_f32_e64 v9, v2, -v3
; %bb.41:
	s_or_b64 exec, exec, s[0:1]
                                        ; implicit-def: $vgpr2_vgpr3_vgpr4_vgpr5
.LBB11_42:
	s_andn2_saveexec_b64 s[4:5], s[4:5]
	s_cbranch_execz .LBB11_48
; %bb.43:
	v_and_b32_e32 v2, 0x7fffffff, v5
	s_mov_b32 s6, 0x42000000
	v_div_scale_f32 v3, s[0:1], v2, v2, s6
	v_rcp_f32_e32 v4, v3
	v_div_scale_f32 v2, vcc, s6, v2, s6
	s_mov_b32 s0, 0x3fb8aa3b
	v_fma_f32 v9, -v3, v4, 1.0
	v_fmac_f32_e32 v4, v9, v4
	v_mul_f32_e32 v9, v2, v4
	v_fma_f32 v11, -v3, v9, v2
	v_fmac_f32_e32 v9, v11, v4
	v_fma_f32 v2, -v3, v9, v2
	v_div_fmas_f32 v2, v2, v4, v9
	v_div_fixup_f32 v2, v2, |v5|, s6
	v_add_f32_e32 v2, -2.0, v2
	v_mov_b32_e32 v3, 0x22a2dc57
	v_fmac_f32_e32 v3, 0x230aab6e, v2
	v_fmaak_f32 v4, v2, v3, 0xa30aab6e
	v_add_f32_e32 v4, 0xa456751e, v4
	v_fma_f32 v3, v2, v4, -v3
	v_add_f32_e32 v3, 0xa4140365, v3
	v_fma_f32 v4, v2, v3, -v4
	;; [unrolled: 2-line block ×18, first 2 shown]
	v_mul_f32_e64 v9, |v5|, s0
	v_add_f32_e32 v4, 0xb486dfe9, v4
	v_rndne_f32_e32 v11, v9
	v_fma_f32 v3, v2, v4, -v3
	v_sub_f32_e32 v12, v9, v11
	v_fma_f32 v9, |v5|, s0, -v9
	s_mov_b32 s0, 0x32a5705f
	v_add_f32_e32 v3, 0xb68246fa, v3
	v_fma_f32 v9, |v5|, s0, v9
	v_fma_f32 v4, v2, v3, -v4
	v_add_f32_e32 v9, v12, v9
	v_add_f32_e32 v4, 0xb8e7ebfc, v4
	v_exp_f32_e32 v9, v9
	v_cvt_i32_f32_e32 v11, v11
	v_fma_f32 v3, v2, v4, -v3
	v_add_f32_e32 v3, 0xbc1fed03, v3
	v_fma_f32 v2, v2, v3, -v4
	s_mov_b32 s0, 0xc2ce8ed0
	v_add_f32_e32 v3, 0x3f4750c6, v2
	v_ldexp_f32 v2, v9, v11
	v_cmp_nlt_f32_e64 s[0:1], |v5|, s0
	v_mov_b32_e32 v9, 0x7f800000
	v_cmp_ngt_f32_e32 vcc, 0, v5
	v_cndmask_b32_e64 v2, 0, v2, s[0:1]
	s_mov_b32 s0, 0x42b17218
	v_cmp_ngt_f32_e64 s[0:1], |v5|, s0
	v_sub_f32_e32 v3, v3, v4
	s_nop 0
	v_cndmask_b32_e64 v2, v9, v2, s[0:1]
	s_and_saveexec_b64 s[0:1], vcc
	s_xor_b64 s[6:7], exec, s[0:1]
	s_cbranch_execz .LBB11_45
; %bb.44:
	s_mov_b32 s0, 0xf800000
	s_mov_b32 s1, 0x4f800000
	v_mul_f32_e64 v4, |v5|, s1
	v_cmp_lt_f32_e64 vcc, |v5|, s0
	v_mul_f32_e32 v3, 0.5, v3
	v_mul_f32_e32 v2, v2, v3
	v_cndmask_b32_e64 v4, |v5|, v4, vcc
	v_sqrt_f32_e32 v5, v4
	s_nop 0
	v_add_u32_e32 v3, -1, v5
	v_fma_f32 v9, -v3, v5, v4
	v_cmp_ge_f32_e64 s[0:1], 0, v9
	v_add_u32_e32 v9, 1, v5
	s_nop 0
	v_cndmask_b32_e64 v3, v5, v3, s[0:1]
	v_fma_f32 v5, -v9, v5, v4
	v_cmp_lt_f32_e64 s[0:1], 0, v5
	s_nop 1
	v_cndmask_b32_e64 v3, v3, v9, s[0:1]
	v_mul_f32_e32 v5, 0x37800000, v3
	v_cndmask_b32_e32 v3, v3, v5, vcc
	v_mov_b32_e32 v5, 0x260
	v_cmp_class_f32_e32 vcc, v4, v5
	s_nop 1
	v_cndmask_b32_e32 v3, v3, v4, vcc
	v_div_scale_f32 v4, s[0:1], v3, v3, v2
	v_rcp_f32_e32 v5, v4
	s_nop 0
	v_fma_f32 v9, -v4, v5, 1.0
	v_fmac_f32_e32 v5, v9, v5
	v_div_scale_f32 v9, vcc, v2, v3, v2
	v_mul_f32_e32 v11, v9, v5
	v_fma_f32 v12, -v4, v11, v9
	v_fmac_f32_e32 v11, v12, v5
	v_fma_f32 v4, -v4, v11, v9
	v_div_fmas_f32 v4, v4, v5, v11
	v_div_fixup_f32 v9, v4, v3, v2
                                        ; implicit-def: $vgpr2_vgpr3_vgpr4_vgpr5
                                        ; implicit-def: $vgpr3
                                        ; implicit-def: $vgpr2
.LBB11_45:
	s_andn2_saveexec_b64 s[6:7], s[6:7]
	s_cbranch_execz .LBB11_47
; %bb.46:
	s_mov_b32 s0, 0xf800000
	s_mov_b32 s1, 0x4f800000
	v_mul_f32_e64 v4, |v5|, s1
	v_cmp_lt_f32_e64 vcc, |v5|, s0
	v_mul_f32_e32 v3, -0.5, v3
	v_mul_f32_e32 v2, v2, v3
	v_cndmask_b32_e64 v4, |v5|, v4, vcc
	v_sqrt_f32_e32 v5, v4
	s_nop 0
	v_add_u32_e32 v9, -1, v5
	v_fma_f32 v11, -v9, v5, v4
	v_cmp_ge_f32_e64 s[0:1], 0, v11
	v_add_u32_e32 v11, 1, v5
	s_nop 0
	v_cndmask_b32_e64 v9, v5, v9, s[0:1]
	v_fma_f32 v5, -v11, v5, v4
	v_cmp_lt_f32_e64 s[0:1], 0, v5
	s_nop 1
	v_cndmask_b32_e64 v5, v9, v11, s[0:1]
	v_mul_f32_e32 v9, 0x37800000, v5
	v_cndmask_b32_e32 v5, v5, v9, vcc
	v_mov_b32_e32 v9, 0x260
	v_cmp_class_f32_e32 vcc, v4, v9
	s_nop 1
	v_cndmask_b32_e32 v4, v5, v4, vcc
	v_div_scale_f32 v3, s[0:1], v4, v4, v2
	v_rcp_f32_e32 v5, v3
	s_nop 0
	v_fma_f32 v9, -v3, v5, 1.0
	v_fmac_f32_e32 v5, v9, v5
	v_div_scale_f32 v9, vcc, v2, v4, v2
	v_mul_f32_e32 v11, v9, v5
	v_fma_f32 v12, -v3, v11, v9
	v_fmac_f32_e32 v11, v12, v5
	v_fma_f32 v3, -v3, v11, v9
	v_div_fmas_f32 v3, v3, v5, v11
	v_div_fixup_f32 v9, v3, v4, v2
.LBB11_47:
	s_or_b64 exec, exec, s[6:7]
.LBB11_48:
	s_or_b64 exec, exec, s[4:5]
	v_lshl_add_u64 v[0:1], s[2:3], 2, v[0:1]
	v_mov_b32_e32 v11, 0
	v_lshl_add_u64 v[0:1], v[0:1], 0, v[10:11]
	flat_store_dwordx4 v[0:1], v[6:9]
	s_waitcnt vmcnt(0) lgkmcnt(0)
	s_setpc_b64 s[30:31]
.Lfunc_end11:
	.size	_ZN2at6native25elementwise_kernel_helperILb0EZZZNS0_12_GLOBAL__N_130modified_bessel_i1_kernel_cudaERNS_18TensorIteratorBaseEENKUlvE_clEvENKUlvE0_clEvEUlfE_NS0_6memory8policies10vectorizedILi4ESt5arrayIPcLm2EELi4EEEEEvT0_T1_, .Lfunc_end11-_ZN2at6native25elementwise_kernel_helperILb0EZZZNS0_12_GLOBAL__N_130modified_bessel_i1_kernel_cudaERNS_18TensorIteratorBaseEENKUlvE_clEvENKUlvE0_clEvEUlfE_NS0_6memory8policies10vectorizedILi4ESt5arrayIPcLm2EELi4EEEEEvT0_T1_
                                        ; -- End function
	.set .L_ZN2at6native25elementwise_kernel_helperILb0EZZZNS0_12_GLOBAL__N_130modified_bessel_i1_kernel_cudaERNS_18TensorIteratorBaseEENKUlvE_clEvENKUlvE0_clEvEUlfE_NS0_6memory8policies10vectorizedILi4ESt5arrayIPcLm2EELi4EEEEEvT0_T1_.num_vgpr, 32
	.set .L_ZN2at6native25elementwise_kernel_helperILb0EZZZNS0_12_GLOBAL__N_130modified_bessel_i1_kernel_cudaERNS_18TensorIteratorBaseEENKUlvE_clEvENKUlvE0_clEvEUlfE_NS0_6memory8policies10vectorizedILi4ESt5arrayIPcLm2EELi4EEEEEvT0_T1_.num_agpr, 0
	.set .L_ZN2at6native25elementwise_kernel_helperILb0EZZZNS0_12_GLOBAL__N_130modified_bessel_i1_kernel_cudaERNS_18TensorIteratorBaseEENKUlvE_clEvENKUlvE0_clEvEUlfE_NS0_6memory8policies10vectorizedILi4ESt5arrayIPcLm2EELi4EEEEEvT0_T1_.numbered_sgpr, 32
	.set .L_ZN2at6native25elementwise_kernel_helperILb0EZZZNS0_12_GLOBAL__N_130modified_bessel_i1_kernel_cudaERNS_18TensorIteratorBaseEENKUlvE_clEvENKUlvE0_clEvEUlfE_NS0_6memory8policies10vectorizedILi4ESt5arrayIPcLm2EELi4EEEEEvT0_T1_.num_named_barrier, 0
	.set .L_ZN2at6native25elementwise_kernel_helperILb0EZZZNS0_12_GLOBAL__N_130modified_bessel_i1_kernel_cudaERNS_18TensorIteratorBaseEENKUlvE_clEvENKUlvE0_clEvEUlfE_NS0_6memory8policies10vectorizedILi4ESt5arrayIPcLm2EELi4EEEEEvT0_T1_.private_seg_size, 0
	.set .L_ZN2at6native25elementwise_kernel_helperILb0EZZZNS0_12_GLOBAL__N_130modified_bessel_i1_kernel_cudaERNS_18TensorIteratorBaseEENKUlvE_clEvENKUlvE0_clEvEUlfE_NS0_6memory8policies10vectorizedILi4ESt5arrayIPcLm2EELi4EEEEEvT0_T1_.uses_vcc, 1
	.set .L_ZN2at6native25elementwise_kernel_helperILb0EZZZNS0_12_GLOBAL__N_130modified_bessel_i1_kernel_cudaERNS_18TensorIteratorBaseEENKUlvE_clEvENKUlvE0_clEvEUlfE_NS0_6memory8policies10vectorizedILi4ESt5arrayIPcLm2EELi4EEEEEvT0_T1_.uses_flat_scratch, 0
	.set .L_ZN2at6native25elementwise_kernel_helperILb0EZZZNS0_12_GLOBAL__N_130modified_bessel_i1_kernel_cudaERNS_18TensorIteratorBaseEENKUlvE_clEvENKUlvE0_clEvEUlfE_NS0_6memory8policies10vectorizedILi4ESt5arrayIPcLm2EELi4EEEEEvT0_T1_.has_dyn_sized_stack, 0
	.set .L_ZN2at6native25elementwise_kernel_helperILb0EZZZNS0_12_GLOBAL__N_130modified_bessel_i1_kernel_cudaERNS_18TensorIteratorBaseEENKUlvE_clEvENKUlvE0_clEvEUlfE_NS0_6memory8policies10vectorizedILi4ESt5arrayIPcLm2EELi4EEEEEvT0_T1_.has_recursion, 0
	.set .L_ZN2at6native25elementwise_kernel_helperILb0EZZZNS0_12_GLOBAL__N_130modified_bessel_i1_kernel_cudaERNS_18TensorIteratorBaseEENKUlvE_clEvENKUlvE0_clEvEUlfE_NS0_6memory8policies10vectorizedILi4ESt5arrayIPcLm2EELi4EEEEEvT0_T1_.has_indirect_call, 0
	.section	.AMDGPU.csdata,"",@progbits
; Function info:
; codeLenInByte = 7140
; TotalNumSgprs: 38
; NumVgprs: 32
; NumAgprs: 0
; TotalNumVgprs: 32
; ScratchSize: 0
; MemoryBound: 0
	.section	.text._ZN2at6native29vectorized_elementwise_kernelILi16EZZZNS0_12_GLOBAL__N_130modified_bessel_i1_kernel_cudaERNS_18TensorIteratorBaseEENKUlvE_clEvENKUlvE0_clEvEUlfE_St5arrayIPcLm2EEEEviT0_T1_,"axG",@progbits,_ZN2at6native29vectorized_elementwise_kernelILi16EZZZNS0_12_GLOBAL__N_130modified_bessel_i1_kernel_cudaERNS_18TensorIteratorBaseEENKUlvE_clEvENKUlvE0_clEvEUlfE_St5arrayIPcLm2EEEEviT0_T1_,comdat
	.globl	_ZN2at6native29vectorized_elementwise_kernelILi16EZZZNS0_12_GLOBAL__N_130modified_bessel_i1_kernel_cudaERNS_18TensorIteratorBaseEENKUlvE_clEvENKUlvE0_clEvEUlfE_St5arrayIPcLm2EEEEviT0_T1_ ; -- Begin function _ZN2at6native29vectorized_elementwise_kernelILi16EZZZNS0_12_GLOBAL__N_130modified_bessel_i1_kernel_cudaERNS_18TensorIteratorBaseEENKUlvE_clEvENKUlvE0_clEvEUlfE_St5arrayIPcLm2EEEEviT0_T1_
	.p2align	8
	.type	_ZN2at6native29vectorized_elementwise_kernelILi16EZZZNS0_12_GLOBAL__N_130modified_bessel_i1_kernel_cudaERNS_18TensorIteratorBaseEENKUlvE_clEvENKUlvE0_clEvEUlfE_St5arrayIPcLm2EEEEviT0_T1_,@function
_ZN2at6native29vectorized_elementwise_kernelILi16EZZZNS0_12_GLOBAL__N_130modified_bessel_i1_kernel_cudaERNS_18TensorIteratorBaseEENKUlvE_clEvENKUlvE0_clEvEUlfE_St5arrayIPcLm2EEEEviT0_T1_: ; @_ZN2at6native29vectorized_elementwise_kernelILi16EZZZNS0_12_GLOBAL__N_130modified_bessel_i1_kernel_cudaERNS_18TensorIteratorBaseEENKUlvE_clEvENKUlvE0_clEvEUlfE_St5arrayIPcLm2EEEEviT0_T1_
; %bb.0:
	s_mov_b32 s12, s2
	s_load_dword s2, s[0:1], 0x0
	s_load_dwordx4 s[8:11], s[0:1], 0x8
	s_lshl_b32 s0, s12, 10
	v_mov_b32_e32 v31, v0
	s_mov_b32 s32, 0
	s_waitcnt lgkmcnt(0)
	s_sub_i32 s13, s2, s0
	s_cmpk_gt_i32 s13, 0x3ff
	s_mov_b64 s[0:1], -1
	s_cbranch_scc1 .LBB12_3
; %bb.1:
	s_andn2_b64 vcc, exec, s[0:1]
	s_cbranch_vccz .LBB12_4
.LBB12_2:
	s_endpgm
.LBB12_3:
	s_getpc_b64 s[0:1]
	s_add_u32 s0, s0, _ZN2at6native25elementwise_kernel_helperILb0EZZZNS0_12_GLOBAL__N_130modified_bessel_i1_kernel_cudaERNS_18TensorIteratorBaseEENKUlvE_clEvENKUlvE0_clEvEUlfE_NS0_6memory8policies10vectorizedILi4ESt5arrayIPcLm2EELi4EEEEEvT0_T1_@rel32@lo+4
	s_addc_u32 s1, s1, _ZN2at6native25elementwise_kernel_helperILb0EZZZNS0_12_GLOBAL__N_130modified_bessel_i1_kernel_cudaERNS_18TensorIteratorBaseEENKUlvE_clEvENKUlvE0_clEvEUlfE_NS0_6memory8policies10vectorizedILi4ESt5arrayIPcLm2EELi4EEEEEvT0_T1_@rel32@hi+12
	v_mov_b32_e32 v0, s8
	v_mov_b32_e32 v1, s9
	;; [unrolled: 1-line block ×4, first 2 shown]
	s_swappc_b64 s[30:31], s[0:1]
	s_cbranch_execnz .LBB12_2
.LBB12_4:
	s_getpc_b64 s[0:1]
	s_add_u32 s0, s0, _ZN2at6native25elementwise_kernel_helperILb0EZZZNS0_12_GLOBAL__N_130modified_bessel_i1_kernel_cudaERNS_18TensorIteratorBaseEENKUlvE_clEvENKUlvE0_clEvEUlfE_NS0_6memory8policies11unroll_baseILi256ESt5arrayIPcLm2EE23TrivialOffsetCalculatorILi1EjESF_NS8_15LoadWithoutCastENS8_16StoreWithoutCastELi4ELi1EEEEEvT0_T1_@rel32@lo+4
	s_addc_u32 s1, s1, _ZN2at6native25elementwise_kernel_helperILb0EZZZNS0_12_GLOBAL__N_130modified_bessel_i1_kernel_cudaERNS_18TensorIteratorBaseEENKUlvE_clEvENKUlvE0_clEvEUlfE_NS0_6memory8policies11unroll_baseILi256ESt5arrayIPcLm2EE23TrivialOffsetCalculatorILi1EjESF_NS8_15LoadWithoutCastENS8_16StoreWithoutCastELi4ELi1EEEEEvT0_T1_@rel32@hi+12
	v_mov_b32_e32 v0, s8
	v_mov_b32_e32 v1, s9
	;; [unrolled: 1-line block ×5, first 2 shown]
	s_swappc_b64 s[30:31], s[0:1]
	s_endpgm
	.section	.rodata,"a",@progbits
	.p2align	6, 0x0
	.amdhsa_kernel _ZN2at6native29vectorized_elementwise_kernelILi16EZZZNS0_12_GLOBAL__N_130modified_bessel_i1_kernel_cudaERNS_18TensorIteratorBaseEENKUlvE_clEvENKUlvE0_clEvEUlfE_St5arrayIPcLm2EEEEviT0_T1_
		.amdhsa_group_segment_fixed_size 0
		.amdhsa_private_segment_fixed_size 0
		.amdhsa_kernarg_size 24
		.amdhsa_user_sgpr_count 2
		.amdhsa_user_sgpr_dispatch_ptr 0
		.amdhsa_user_sgpr_queue_ptr 0
		.amdhsa_user_sgpr_kernarg_segment_ptr 1
		.amdhsa_user_sgpr_dispatch_id 0
		.amdhsa_user_sgpr_kernarg_preload_length 0
		.amdhsa_user_sgpr_kernarg_preload_offset 0
		.amdhsa_user_sgpr_private_segment_size 0
		.amdhsa_uses_dynamic_stack 0
		.amdhsa_enable_private_segment 0
		.amdhsa_system_sgpr_workgroup_id_x 1
		.amdhsa_system_sgpr_workgroup_id_y 0
		.amdhsa_system_sgpr_workgroup_id_z 0
		.amdhsa_system_sgpr_workgroup_info 0
		.amdhsa_system_vgpr_workitem_id 0
		.amdhsa_next_free_vgpr 32
		.amdhsa_next_free_sgpr 33
		.amdhsa_accum_offset 32
		.amdhsa_reserve_vcc 1
		.amdhsa_float_round_mode_32 0
		.amdhsa_float_round_mode_16_64 0
		.amdhsa_float_denorm_mode_32 3
		.amdhsa_float_denorm_mode_16_64 3
		.amdhsa_dx10_clamp 1
		.amdhsa_ieee_mode 1
		.amdhsa_fp16_overflow 0
		.amdhsa_tg_split 0
		.amdhsa_exception_fp_ieee_invalid_op 0
		.amdhsa_exception_fp_denorm_src 0
		.amdhsa_exception_fp_ieee_div_zero 0
		.amdhsa_exception_fp_ieee_overflow 0
		.amdhsa_exception_fp_ieee_underflow 0
		.amdhsa_exception_fp_ieee_inexact 0
		.amdhsa_exception_int_div_zero 0
	.end_amdhsa_kernel
	.section	.text._ZN2at6native29vectorized_elementwise_kernelILi16EZZZNS0_12_GLOBAL__N_130modified_bessel_i1_kernel_cudaERNS_18TensorIteratorBaseEENKUlvE_clEvENKUlvE0_clEvEUlfE_St5arrayIPcLm2EEEEviT0_T1_,"axG",@progbits,_ZN2at6native29vectorized_elementwise_kernelILi16EZZZNS0_12_GLOBAL__N_130modified_bessel_i1_kernel_cudaERNS_18TensorIteratorBaseEENKUlvE_clEvENKUlvE0_clEvEUlfE_St5arrayIPcLm2EEEEviT0_T1_,comdat
.Lfunc_end12:
	.size	_ZN2at6native29vectorized_elementwise_kernelILi16EZZZNS0_12_GLOBAL__N_130modified_bessel_i1_kernel_cudaERNS_18TensorIteratorBaseEENKUlvE_clEvENKUlvE0_clEvEUlfE_St5arrayIPcLm2EEEEviT0_T1_, .Lfunc_end12-_ZN2at6native29vectorized_elementwise_kernelILi16EZZZNS0_12_GLOBAL__N_130modified_bessel_i1_kernel_cudaERNS_18TensorIteratorBaseEENKUlvE_clEvENKUlvE0_clEvEUlfE_St5arrayIPcLm2EEEEviT0_T1_
                                        ; -- End function
	.set _ZN2at6native29vectorized_elementwise_kernelILi16EZZZNS0_12_GLOBAL__N_130modified_bessel_i1_kernel_cudaERNS_18TensorIteratorBaseEENKUlvE_clEvENKUlvE0_clEvEUlfE_St5arrayIPcLm2EEEEviT0_T1_.num_vgpr, max(32, .L_ZN2at6native25elementwise_kernel_helperILb0EZZZNS0_12_GLOBAL__N_130modified_bessel_i1_kernel_cudaERNS_18TensorIteratorBaseEENKUlvE_clEvENKUlvE0_clEvEUlfE_NS0_6memory8policies10vectorizedILi4ESt5arrayIPcLm2EELi4EEEEEvT0_T1_.num_vgpr, .L_ZN2at6native25elementwise_kernel_helperILb0EZZZNS0_12_GLOBAL__N_130modified_bessel_i1_kernel_cudaERNS_18TensorIteratorBaseEENKUlvE_clEvENKUlvE0_clEvEUlfE_NS0_6memory8policies11unroll_baseILi256ESt5arrayIPcLm2EE23TrivialOffsetCalculatorILi1EjESF_NS8_15LoadWithoutCastENS8_16StoreWithoutCastELi4ELi1EEEEEvT0_T1_.num_vgpr)
	.set _ZN2at6native29vectorized_elementwise_kernelILi16EZZZNS0_12_GLOBAL__N_130modified_bessel_i1_kernel_cudaERNS_18TensorIteratorBaseEENKUlvE_clEvENKUlvE0_clEvEUlfE_St5arrayIPcLm2EEEEviT0_T1_.num_agpr, max(0, .L_ZN2at6native25elementwise_kernel_helperILb0EZZZNS0_12_GLOBAL__N_130modified_bessel_i1_kernel_cudaERNS_18TensorIteratorBaseEENKUlvE_clEvENKUlvE0_clEvEUlfE_NS0_6memory8policies10vectorizedILi4ESt5arrayIPcLm2EELi4EEEEEvT0_T1_.num_agpr, .L_ZN2at6native25elementwise_kernel_helperILb0EZZZNS0_12_GLOBAL__N_130modified_bessel_i1_kernel_cudaERNS_18TensorIteratorBaseEENKUlvE_clEvENKUlvE0_clEvEUlfE_NS0_6memory8policies11unroll_baseILi256ESt5arrayIPcLm2EE23TrivialOffsetCalculatorILi1EjESF_NS8_15LoadWithoutCastENS8_16StoreWithoutCastELi4ELi1EEEEEvT0_T1_.num_agpr)
	.set _ZN2at6native29vectorized_elementwise_kernelILi16EZZZNS0_12_GLOBAL__N_130modified_bessel_i1_kernel_cudaERNS_18TensorIteratorBaseEENKUlvE_clEvENKUlvE0_clEvEUlfE_St5arrayIPcLm2EEEEviT0_T1_.numbered_sgpr, max(33, .L_ZN2at6native25elementwise_kernel_helperILb0EZZZNS0_12_GLOBAL__N_130modified_bessel_i1_kernel_cudaERNS_18TensorIteratorBaseEENKUlvE_clEvENKUlvE0_clEvEUlfE_NS0_6memory8policies10vectorizedILi4ESt5arrayIPcLm2EELi4EEEEEvT0_T1_.numbered_sgpr, .L_ZN2at6native25elementwise_kernel_helperILb0EZZZNS0_12_GLOBAL__N_130modified_bessel_i1_kernel_cudaERNS_18TensorIteratorBaseEENKUlvE_clEvENKUlvE0_clEvEUlfE_NS0_6memory8policies11unroll_baseILi256ESt5arrayIPcLm2EE23TrivialOffsetCalculatorILi1EjESF_NS8_15LoadWithoutCastENS8_16StoreWithoutCastELi4ELi1EEEEEvT0_T1_.numbered_sgpr)
	.set _ZN2at6native29vectorized_elementwise_kernelILi16EZZZNS0_12_GLOBAL__N_130modified_bessel_i1_kernel_cudaERNS_18TensorIteratorBaseEENKUlvE_clEvENKUlvE0_clEvEUlfE_St5arrayIPcLm2EEEEviT0_T1_.num_named_barrier, max(0, .L_ZN2at6native25elementwise_kernel_helperILb0EZZZNS0_12_GLOBAL__N_130modified_bessel_i1_kernel_cudaERNS_18TensorIteratorBaseEENKUlvE_clEvENKUlvE0_clEvEUlfE_NS0_6memory8policies10vectorizedILi4ESt5arrayIPcLm2EELi4EEEEEvT0_T1_.num_named_barrier, .L_ZN2at6native25elementwise_kernel_helperILb0EZZZNS0_12_GLOBAL__N_130modified_bessel_i1_kernel_cudaERNS_18TensorIteratorBaseEENKUlvE_clEvENKUlvE0_clEvEUlfE_NS0_6memory8policies11unroll_baseILi256ESt5arrayIPcLm2EE23TrivialOffsetCalculatorILi1EjESF_NS8_15LoadWithoutCastENS8_16StoreWithoutCastELi4ELi1EEEEEvT0_T1_.num_named_barrier)
	.set _ZN2at6native29vectorized_elementwise_kernelILi16EZZZNS0_12_GLOBAL__N_130modified_bessel_i1_kernel_cudaERNS_18TensorIteratorBaseEENKUlvE_clEvENKUlvE0_clEvEUlfE_St5arrayIPcLm2EEEEviT0_T1_.private_seg_size, 0+max(.L_ZN2at6native25elementwise_kernel_helperILb0EZZZNS0_12_GLOBAL__N_130modified_bessel_i1_kernel_cudaERNS_18TensorIteratorBaseEENKUlvE_clEvENKUlvE0_clEvEUlfE_NS0_6memory8policies10vectorizedILi4ESt5arrayIPcLm2EELi4EEEEEvT0_T1_.private_seg_size, .L_ZN2at6native25elementwise_kernel_helperILb0EZZZNS0_12_GLOBAL__N_130modified_bessel_i1_kernel_cudaERNS_18TensorIteratorBaseEENKUlvE_clEvENKUlvE0_clEvEUlfE_NS0_6memory8policies11unroll_baseILi256ESt5arrayIPcLm2EE23TrivialOffsetCalculatorILi1EjESF_NS8_15LoadWithoutCastENS8_16StoreWithoutCastELi4ELi1EEEEEvT0_T1_.private_seg_size)
	.set _ZN2at6native29vectorized_elementwise_kernelILi16EZZZNS0_12_GLOBAL__N_130modified_bessel_i1_kernel_cudaERNS_18TensorIteratorBaseEENKUlvE_clEvENKUlvE0_clEvEUlfE_St5arrayIPcLm2EEEEviT0_T1_.uses_vcc, or(1, .L_ZN2at6native25elementwise_kernel_helperILb0EZZZNS0_12_GLOBAL__N_130modified_bessel_i1_kernel_cudaERNS_18TensorIteratorBaseEENKUlvE_clEvENKUlvE0_clEvEUlfE_NS0_6memory8policies10vectorizedILi4ESt5arrayIPcLm2EELi4EEEEEvT0_T1_.uses_vcc, .L_ZN2at6native25elementwise_kernel_helperILb0EZZZNS0_12_GLOBAL__N_130modified_bessel_i1_kernel_cudaERNS_18TensorIteratorBaseEENKUlvE_clEvENKUlvE0_clEvEUlfE_NS0_6memory8policies11unroll_baseILi256ESt5arrayIPcLm2EE23TrivialOffsetCalculatorILi1EjESF_NS8_15LoadWithoutCastENS8_16StoreWithoutCastELi4ELi1EEEEEvT0_T1_.uses_vcc)
	.set _ZN2at6native29vectorized_elementwise_kernelILi16EZZZNS0_12_GLOBAL__N_130modified_bessel_i1_kernel_cudaERNS_18TensorIteratorBaseEENKUlvE_clEvENKUlvE0_clEvEUlfE_St5arrayIPcLm2EEEEviT0_T1_.uses_flat_scratch, or(0, .L_ZN2at6native25elementwise_kernel_helperILb0EZZZNS0_12_GLOBAL__N_130modified_bessel_i1_kernel_cudaERNS_18TensorIteratorBaseEENKUlvE_clEvENKUlvE0_clEvEUlfE_NS0_6memory8policies10vectorizedILi4ESt5arrayIPcLm2EELi4EEEEEvT0_T1_.uses_flat_scratch, .L_ZN2at6native25elementwise_kernel_helperILb0EZZZNS0_12_GLOBAL__N_130modified_bessel_i1_kernel_cudaERNS_18TensorIteratorBaseEENKUlvE_clEvENKUlvE0_clEvEUlfE_NS0_6memory8policies11unroll_baseILi256ESt5arrayIPcLm2EE23TrivialOffsetCalculatorILi1EjESF_NS8_15LoadWithoutCastENS8_16StoreWithoutCastELi4ELi1EEEEEvT0_T1_.uses_flat_scratch)
	.set _ZN2at6native29vectorized_elementwise_kernelILi16EZZZNS0_12_GLOBAL__N_130modified_bessel_i1_kernel_cudaERNS_18TensorIteratorBaseEENKUlvE_clEvENKUlvE0_clEvEUlfE_St5arrayIPcLm2EEEEviT0_T1_.has_dyn_sized_stack, or(0, .L_ZN2at6native25elementwise_kernel_helperILb0EZZZNS0_12_GLOBAL__N_130modified_bessel_i1_kernel_cudaERNS_18TensorIteratorBaseEENKUlvE_clEvENKUlvE0_clEvEUlfE_NS0_6memory8policies10vectorizedILi4ESt5arrayIPcLm2EELi4EEEEEvT0_T1_.has_dyn_sized_stack, .L_ZN2at6native25elementwise_kernel_helperILb0EZZZNS0_12_GLOBAL__N_130modified_bessel_i1_kernel_cudaERNS_18TensorIteratorBaseEENKUlvE_clEvENKUlvE0_clEvEUlfE_NS0_6memory8policies11unroll_baseILi256ESt5arrayIPcLm2EE23TrivialOffsetCalculatorILi1EjESF_NS8_15LoadWithoutCastENS8_16StoreWithoutCastELi4ELi1EEEEEvT0_T1_.has_dyn_sized_stack)
	.set _ZN2at6native29vectorized_elementwise_kernelILi16EZZZNS0_12_GLOBAL__N_130modified_bessel_i1_kernel_cudaERNS_18TensorIteratorBaseEENKUlvE_clEvENKUlvE0_clEvEUlfE_St5arrayIPcLm2EEEEviT0_T1_.has_recursion, or(0, .L_ZN2at6native25elementwise_kernel_helperILb0EZZZNS0_12_GLOBAL__N_130modified_bessel_i1_kernel_cudaERNS_18TensorIteratorBaseEENKUlvE_clEvENKUlvE0_clEvEUlfE_NS0_6memory8policies10vectorizedILi4ESt5arrayIPcLm2EELi4EEEEEvT0_T1_.has_recursion, .L_ZN2at6native25elementwise_kernel_helperILb0EZZZNS0_12_GLOBAL__N_130modified_bessel_i1_kernel_cudaERNS_18TensorIteratorBaseEENKUlvE_clEvENKUlvE0_clEvEUlfE_NS0_6memory8policies11unroll_baseILi256ESt5arrayIPcLm2EE23TrivialOffsetCalculatorILi1EjESF_NS8_15LoadWithoutCastENS8_16StoreWithoutCastELi4ELi1EEEEEvT0_T1_.has_recursion)
	.set _ZN2at6native29vectorized_elementwise_kernelILi16EZZZNS0_12_GLOBAL__N_130modified_bessel_i1_kernel_cudaERNS_18TensorIteratorBaseEENKUlvE_clEvENKUlvE0_clEvEUlfE_St5arrayIPcLm2EEEEviT0_T1_.has_indirect_call, or(0, .L_ZN2at6native25elementwise_kernel_helperILb0EZZZNS0_12_GLOBAL__N_130modified_bessel_i1_kernel_cudaERNS_18TensorIteratorBaseEENKUlvE_clEvENKUlvE0_clEvEUlfE_NS0_6memory8policies10vectorizedILi4ESt5arrayIPcLm2EELi4EEEEEvT0_T1_.has_indirect_call, .L_ZN2at6native25elementwise_kernel_helperILb0EZZZNS0_12_GLOBAL__N_130modified_bessel_i1_kernel_cudaERNS_18TensorIteratorBaseEENKUlvE_clEvENKUlvE0_clEvEUlfE_NS0_6memory8policies11unroll_baseILi256ESt5arrayIPcLm2EE23TrivialOffsetCalculatorILi1EjESF_NS8_15LoadWithoutCastENS8_16StoreWithoutCastELi4ELi1EEEEEvT0_T1_.has_indirect_call)
	.section	.AMDGPU.csdata,"",@progbits
; Kernel info:
; codeLenInByte = 156
; TotalNumSgprs: 39
; NumVgprs: 32
; NumAgprs: 0
; TotalNumVgprs: 32
; ScratchSize: 0
; MemoryBound: 0
; FloatMode: 240
; IeeeMode: 1
; LDSByteSize: 0 bytes/workgroup (compile time only)
; SGPRBlocks: 4
; VGPRBlocks: 3
; NumSGPRsForWavesPerEU: 39
; NumVGPRsForWavesPerEU: 32
; AccumOffset: 32
; Occupancy: 8
; WaveLimiterHint : 0
; COMPUTE_PGM_RSRC2:SCRATCH_EN: 0
; COMPUTE_PGM_RSRC2:USER_SGPR: 2
; COMPUTE_PGM_RSRC2:TRAP_HANDLER: 0
; COMPUTE_PGM_RSRC2:TGID_X_EN: 1
; COMPUTE_PGM_RSRC2:TGID_Y_EN: 0
; COMPUTE_PGM_RSRC2:TGID_Z_EN: 0
; COMPUTE_PGM_RSRC2:TIDIG_COMP_CNT: 0
; COMPUTE_PGM_RSRC3_GFX90A:ACCUM_OFFSET: 7
; COMPUTE_PGM_RSRC3_GFX90A:TG_SPLIT: 0
	.section	.text._ZN2at6native29vectorized_elementwise_kernelILi8EZZZNS0_12_GLOBAL__N_130modified_bessel_i1_kernel_cudaERNS_18TensorIteratorBaseEENKUlvE_clEvENKUlvE0_clEvEUlfE_St5arrayIPcLm2EEEEviT0_T1_,"axG",@progbits,_ZN2at6native29vectorized_elementwise_kernelILi8EZZZNS0_12_GLOBAL__N_130modified_bessel_i1_kernel_cudaERNS_18TensorIteratorBaseEENKUlvE_clEvENKUlvE0_clEvEUlfE_St5arrayIPcLm2EEEEviT0_T1_,comdat
	.globl	_ZN2at6native29vectorized_elementwise_kernelILi8EZZZNS0_12_GLOBAL__N_130modified_bessel_i1_kernel_cudaERNS_18TensorIteratorBaseEENKUlvE_clEvENKUlvE0_clEvEUlfE_St5arrayIPcLm2EEEEviT0_T1_ ; -- Begin function _ZN2at6native29vectorized_elementwise_kernelILi8EZZZNS0_12_GLOBAL__N_130modified_bessel_i1_kernel_cudaERNS_18TensorIteratorBaseEENKUlvE_clEvENKUlvE0_clEvEUlfE_St5arrayIPcLm2EEEEviT0_T1_
	.p2align	8
	.type	_ZN2at6native29vectorized_elementwise_kernelILi8EZZZNS0_12_GLOBAL__N_130modified_bessel_i1_kernel_cudaERNS_18TensorIteratorBaseEENKUlvE_clEvENKUlvE0_clEvEUlfE_St5arrayIPcLm2EEEEviT0_T1_,@function
_ZN2at6native29vectorized_elementwise_kernelILi8EZZZNS0_12_GLOBAL__N_130modified_bessel_i1_kernel_cudaERNS_18TensorIteratorBaseEENKUlvE_clEvENKUlvE0_clEvEUlfE_St5arrayIPcLm2EEEEviT0_T1_: ; @_ZN2at6native29vectorized_elementwise_kernelILi8EZZZNS0_12_GLOBAL__N_130modified_bessel_i1_kernel_cudaERNS_18TensorIteratorBaseEENKUlvE_clEvENKUlvE0_clEvEUlfE_St5arrayIPcLm2EEEEviT0_T1_
; %bb.0:
	s_mov_b32 s12, s2
	s_load_dword s2, s[0:1], 0x0
	s_load_dwordx4 s[8:11], s[0:1], 0x8
	s_lshl_b32 s0, s12, 10
	v_mov_b32_e32 v31, v0
	s_mov_b32 s32, 0
	s_waitcnt lgkmcnt(0)
	s_sub_i32 s13, s2, s0
	s_cmpk_gt_i32 s13, 0x3ff
	s_mov_b64 s[0:1], -1
	s_cbranch_scc1 .LBB13_3
; %bb.1:
	s_andn2_b64 vcc, exec, s[0:1]
	s_cbranch_vccz .LBB13_4
.LBB13_2:
	s_endpgm
.LBB13_3:
	s_getpc_b64 s[0:1]
	s_add_u32 s0, s0, _ZN2at6native25elementwise_kernel_helperILb0EZZZNS0_12_GLOBAL__N_130modified_bessel_i1_kernel_cudaERNS_18TensorIteratorBaseEENKUlvE_clEvENKUlvE0_clEvEUlfE_NS0_6memory8policies10vectorizedILi4ESt5arrayIPcLm2EELi4EEEEEvT0_T1_@rel32@lo+4
	s_addc_u32 s1, s1, _ZN2at6native25elementwise_kernel_helperILb0EZZZNS0_12_GLOBAL__N_130modified_bessel_i1_kernel_cudaERNS_18TensorIteratorBaseEENKUlvE_clEvENKUlvE0_clEvEUlfE_NS0_6memory8policies10vectorizedILi4ESt5arrayIPcLm2EELi4EEEEEvT0_T1_@rel32@hi+12
	v_mov_b32_e32 v0, s8
	v_mov_b32_e32 v1, s9
	;; [unrolled: 1-line block ×4, first 2 shown]
	s_swappc_b64 s[30:31], s[0:1]
	s_cbranch_execnz .LBB13_2
.LBB13_4:
	s_getpc_b64 s[0:1]
	s_add_u32 s0, s0, _ZN2at6native25elementwise_kernel_helperILb0EZZZNS0_12_GLOBAL__N_130modified_bessel_i1_kernel_cudaERNS_18TensorIteratorBaseEENKUlvE_clEvENKUlvE0_clEvEUlfE_NS0_6memory8policies11unroll_baseILi256ESt5arrayIPcLm2EE23TrivialOffsetCalculatorILi1EjESF_NS8_15LoadWithoutCastENS8_16StoreWithoutCastELi4ELi1EEEEEvT0_T1_@rel32@lo+4
	s_addc_u32 s1, s1, _ZN2at6native25elementwise_kernel_helperILb0EZZZNS0_12_GLOBAL__N_130modified_bessel_i1_kernel_cudaERNS_18TensorIteratorBaseEENKUlvE_clEvENKUlvE0_clEvEUlfE_NS0_6memory8policies11unroll_baseILi256ESt5arrayIPcLm2EE23TrivialOffsetCalculatorILi1EjESF_NS8_15LoadWithoutCastENS8_16StoreWithoutCastELi4ELi1EEEEEvT0_T1_@rel32@hi+12
	v_mov_b32_e32 v0, s8
	v_mov_b32_e32 v1, s9
	;; [unrolled: 1-line block ×5, first 2 shown]
	s_swappc_b64 s[30:31], s[0:1]
	s_endpgm
	.section	.rodata,"a",@progbits
	.p2align	6, 0x0
	.amdhsa_kernel _ZN2at6native29vectorized_elementwise_kernelILi8EZZZNS0_12_GLOBAL__N_130modified_bessel_i1_kernel_cudaERNS_18TensorIteratorBaseEENKUlvE_clEvENKUlvE0_clEvEUlfE_St5arrayIPcLm2EEEEviT0_T1_
		.amdhsa_group_segment_fixed_size 0
		.amdhsa_private_segment_fixed_size 0
		.amdhsa_kernarg_size 24
		.amdhsa_user_sgpr_count 2
		.amdhsa_user_sgpr_dispatch_ptr 0
		.amdhsa_user_sgpr_queue_ptr 0
		.amdhsa_user_sgpr_kernarg_segment_ptr 1
		.amdhsa_user_sgpr_dispatch_id 0
		.amdhsa_user_sgpr_kernarg_preload_length 0
		.amdhsa_user_sgpr_kernarg_preload_offset 0
		.amdhsa_user_sgpr_private_segment_size 0
		.amdhsa_uses_dynamic_stack 0
		.amdhsa_enable_private_segment 0
		.amdhsa_system_sgpr_workgroup_id_x 1
		.amdhsa_system_sgpr_workgroup_id_y 0
		.amdhsa_system_sgpr_workgroup_id_z 0
		.amdhsa_system_sgpr_workgroup_info 0
		.amdhsa_system_vgpr_workitem_id 0
		.amdhsa_next_free_vgpr 32
		.amdhsa_next_free_sgpr 33
		.amdhsa_accum_offset 32
		.amdhsa_reserve_vcc 1
		.amdhsa_float_round_mode_32 0
		.amdhsa_float_round_mode_16_64 0
		.amdhsa_float_denorm_mode_32 3
		.amdhsa_float_denorm_mode_16_64 3
		.amdhsa_dx10_clamp 1
		.amdhsa_ieee_mode 1
		.amdhsa_fp16_overflow 0
		.amdhsa_tg_split 0
		.amdhsa_exception_fp_ieee_invalid_op 0
		.amdhsa_exception_fp_denorm_src 0
		.amdhsa_exception_fp_ieee_div_zero 0
		.amdhsa_exception_fp_ieee_overflow 0
		.amdhsa_exception_fp_ieee_underflow 0
		.amdhsa_exception_fp_ieee_inexact 0
		.amdhsa_exception_int_div_zero 0
	.end_amdhsa_kernel
	.section	.text._ZN2at6native29vectorized_elementwise_kernelILi8EZZZNS0_12_GLOBAL__N_130modified_bessel_i1_kernel_cudaERNS_18TensorIteratorBaseEENKUlvE_clEvENKUlvE0_clEvEUlfE_St5arrayIPcLm2EEEEviT0_T1_,"axG",@progbits,_ZN2at6native29vectorized_elementwise_kernelILi8EZZZNS0_12_GLOBAL__N_130modified_bessel_i1_kernel_cudaERNS_18TensorIteratorBaseEENKUlvE_clEvENKUlvE0_clEvEUlfE_St5arrayIPcLm2EEEEviT0_T1_,comdat
.Lfunc_end13:
	.size	_ZN2at6native29vectorized_elementwise_kernelILi8EZZZNS0_12_GLOBAL__N_130modified_bessel_i1_kernel_cudaERNS_18TensorIteratorBaseEENKUlvE_clEvENKUlvE0_clEvEUlfE_St5arrayIPcLm2EEEEviT0_T1_, .Lfunc_end13-_ZN2at6native29vectorized_elementwise_kernelILi8EZZZNS0_12_GLOBAL__N_130modified_bessel_i1_kernel_cudaERNS_18TensorIteratorBaseEENKUlvE_clEvENKUlvE0_clEvEUlfE_St5arrayIPcLm2EEEEviT0_T1_
                                        ; -- End function
	.set _ZN2at6native29vectorized_elementwise_kernelILi8EZZZNS0_12_GLOBAL__N_130modified_bessel_i1_kernel_cudaERNS_18TensorIteratorBaseEENKUlvE_clEvENKUlvE0_clEvEUlfE_St5arrayIPcLm2EEEEviT0_T1_.num_vgpr, max(32, .L_ZN2at6native25elementwise_kernel_helperILb0EZZZNS0_12_GLOBAL__N_130modified_bessel_i1_kernel_cudaERNS_18TensorIteratorBaseEENKUlvE_clEvENKUlvE0_clEvEUlfE_NS0_6memory8policies10vectorizedILi4ESt5arrayIPcLm2EELi4EEEEEvT0_T1_.num_vgpr, .L_ZN2at6native25elementwise_kernel_helperILb0EZZZNS0_12_GLOBAL__N_130modified_bessel_i1_kernel_cudaERNS_18TensorIteratorBaseEENKUlvE_clEvENKUlvE0_clEvEUlfE_NS0_6memory8policies11unroll_baseILi256ESt5arrayIPcLm2EE23TrivialOffsetCalculatorILi1EjESF_NS8_15LoadWithoutCastENS8_16StoreWithoutCastELi4ELi1EEEEEvT0_T1_.num_vgpr)
	.set _ZN2at6native29vectorized_elementwise_kernelILi8EZZZNS0_12_GLOBAL__N_130modified_bessel_i1_kernel_cudaERNS_18TensorIteratorBaseEENKUlvE_clEvENKUlvE0_clEvEUlfE_St5arrayIPcLm2EEEEviT0_T1_.num_agpr, max(0, .L_ZN2at6native25elementwise_kernel_helperILb0EZZZNS0_12_GLOBAL__N_130modified_bessel_i1_kernel_cudaERNS_18TensorIteratorBaseEENKUlvE_clEvENKUlvE0_clEvEUlfE_NS0_6memory8policies10vectorizedILi4ESt5arrayIPcLm2EELi4EEEEEvT0_T1_.num_agpr, .L_ZN2at6native25elementwise_kernel_helperILb0EZZZNS0_12_GLOBAL__N_130modified_bessel_i1_kernel_cudaERNS_18TensorIteratorBaseEENKUlvE_clEvENKUlvE0_clEvEUlfE_NS0_6memory8policies11unroll_baseILi256ESt5arrayIPcLm2EE23TrivialOffsetCalculatorILi1EjESF_NS8_15LoadWithoutCastENS8_16StoreWithoutCastELi4ELi1EEEEEvT0_T1_.num_agpr)
	.set _ZN2at6native29vectorized_elementwise_kernelILi8EZZZNS0_12_GLOBAL__N_130modified_bessel_i1_kernel_cudaERNS_18TensorIteratorBaseEENKUlvE_clEvENKUlvE0_clEvEUlfE_St5arrayIPcLm2EEEEviT0_T1_.numbered_sgpr, max(33, .L_ZN2at6native25elementwise_kernel_helperILb0EZZZNS0_12_GLOBAL__N_130modified_bessel_i1_kernel_cudaERNS_18TensorIteratorBaseEENKUlvE_clEvENKUlvE0_clEvEUlfE_NS0_6memory8policies10vectorizedILi4ESt5arrayIPcLm2EELi4EEEEEvT0_T1_.numbered_sgpr, .L_ZN2at6native25elementwise_kernel_helperILb0EZZZNS0_12_GLOBAL__N_130modified_bessel_i1_kernel_cudaERNS_18TensorIteratorBaseEENKUlvE_clEvENKUlvE0_clEvEUlfE_NS0_6memory8policies11unroll_baseILi256ESt5arrayIPcLm2EE23TrivialOffsetCalculatorILi1EjESF_NS8_15LoadWithoutCastENS8_16StoreWithoutCastELi4ELi1EEEEEvT0_T1_.numbered_sgpr)
	.set _ZN2at6native29vectorized_elementwise_kernelILi8EZZZNS0_12_GLOBAL__N_130modified_bessel_i1_kernel_cudaERNS_18TensorIteratorBaseEENKUlvE_clEvENKUlvE0_clEvEUlfE_St5arrayIPcLm2EEEEviT0_T1_.num_named_barrier, max(0, .L_ZN2at6native25elementwise_kernel_helperILb0EZZZNS0_12_GLOBAL__N_130modified_bessel_i1_kernel_cudaERNS_18TensorIteratorBaseEENKUlvE_clEvENKUlvE0_clEvEUlfE_NS0_6memory8policies10vectorizedILi4ESt5arrayIPcLm2EELi4EEEEEvT0_T1_.num_named_barrier, .L_ZN2at6native25elementwise_kernel_helperILb0EZZZNS0_12_GLOBAL__N_130modified_bessel_i1_kernel_cudaERNS_18TensorIteratorBaseEENKUlvE_clEvENKUlvE0_clEvEUlfE_NS0_6memory8policies11unroll_baseILi256ESt5arrayIPcLm2EE23TrivialOffsetCalculatorILi1EjESF_NS8_15LoadWithoutCastENS8_16StoreWithoutCastELi4ELi1EEEEEvT0_T1_.num_named_barrier)
	.set _ZN2at6native29vectorized_elementwise_kernelILi8EZZZNS0_12_GLOBAL__N_130modified_bessel_i1_kernel_cudaERNS_18TensorIteratorBaseEENKUlvE_clEvENKUlvE0_clEvEUlfE_St5arrayIPcLm2EEEEviT0_T1_.private_seg_size, 0+max(.L_ZN2at6native25elementwise_kernel_helperILb0EZZZNS0_12_GLOBAL__N_130modified_bessel_i1_kernel_cudaERNS_18TensorIteratorBaseEENKUlvE_clEvENKUlvE0_clEvEUlfE_NS0_6memory8policies10vectorizedILi4ESt5arrayIPcLm2EELi4EEEEEvT0_T1_.private_seg_size, .L_ZN2at6native25elementwise_kernel_helperILb0EZZZNS0_12_GLOBAL__N_130modified_bessel_i1_kernel_cudaERNS_18TensorIteratorBaseEENKUlvE_clEvENKUlvE0_clEvEUlfE_NS0_6memory8policies11unroll_baseILi256ESt5arrayIPcLm2EE23TrivialOffsetCalculatorILi1EjESF_NS8_15LoadWithoutCastENS8_16StoreWithoutCastELi4ELi1EEEEEvT0_T1_.private_seg_size)
	.set _ZN2at6native29vectorized_elementwise_kernelILi8EZZZNS0_12_GLOBAL__N_130modified_bessel_i1_kernel_cudaERNS_18TensorIteratorBaseEENKUlvE_clEvENKUlvE0_clEvEUlfE_St5arrayIPcLm2EEEEviT0_T1_.uses_vcc, or(1, .L_ZN2at6native25elementwise_kernel_helperILb0EZZZNS0_12_GLOBAL__N_130modified_bessel_i1_kernel_cudaERNS_18TensorIteratorBaseEENKUlvE_clEvENKUlvE0_clEvEUlfE_NS0_6memory8policies10vectorizedILi4ESt5arrayIPcLm2EELi4EEEEEvT0_T1_.uses_vcc, .L_ZN2at6native25elementwise_kernel_helperILb0EZZZNS0_12_GLOBAL__N_130modified_bessel_i1_kernel_cudaERNS_18TensorIteratorBaseEENKUlvE_clEvENKUlvE0_clEvEUlfE_NS0_6memory8policies11unroll_baseILi256ESt5arrayIPcLm2EE23TrivialOffsetCalculatorILi1EjESF_NS8_15LoadWithoutCastENS8_16StoreWithoutCastELi4ELi1EEEEEvT0_T1_.uses_vcc)
	.set _ZN2at6native29vectorized_elementwise_kernelILi8EZZZNS0_12_GLOBAL__N_130modified_bessel_i1_kernel_cudaERNS_18TensorIteratorBaseEENKUlvE_clEvENKUlvE0_clEvEUlfE_St5arrayIPcLm2EEEEviT0_T1_.uses_flat_scratch, or(0, .L_ZN2at6native25elementwise_kernel_helperILb0EZZZNS0_12_GLOBAL__N_130modified_bessel_i1_kernel_cudaERNS_18TensorIteratorBaseEENKUlvE_clEvENKUlvE0_clEvEUlfE_NS0_6memory8policies10vectorizedILi4ESt5arrayIPcLm2EELi4EEEEEvT0_T1_.uses_flat_scratch, .L_ZN2at6native25elementwise_kernel_helperILb0EZZZNS0_12_GLOBAL__N_130modified_bessel_i1_kernel_cudaERNS_18TensorIteratorBaseEENKUlvE_clEvENKUlvE0_clEvEUlfE_NS0_6memory8policies11unroll_baseILi256ESt5arrayIPcLm2EE23TrivialOffsetCalculatorILi1EjESF_NS8_15LoadWithoutCastENS8_16StoreWithoutCastELi4ELi1EEEEEvT0_T1_.uses_flat_scratch)
	.set _ZN2at6native29vectorized_elementwise_kernelILi8EZZZNS0_12_GLOBAL__N_130modified_bessel_i1_kernel_cudaERNS_18TensorIteratorBaseEENKUlvE_clEvENKUlvE0_clEvEUlfE_St5arrayIPcLm2EEEEviT0_T1_.has_dyn_sized_stack, or(0, .L_ZN2at6native25elementwise_kernel_helperILb0EZZZNS0_12_GLOBAL__N_130modified_bessel_i1_kernel_cudaERNS_18TensorIteratorBaseEENKUlvE_clEvENKUlvE0_clEvEUlfE_NS0_6memory8policies10vectorizedILi4ESt5arrayIPcLm2EELi4EEEEEvT0_T1_.has_dyn_sized_stack, .L_ZN2at6native25elementwise_kernel_helperILb0EZZZNS0_12_GLOBAL__N_130modified_bessel_i1_kernel_cudaERNS_18TensorIteratorBaseEENKUlvE_clEvENKUlvE0_clEvEUlfE_NS0_6memory8policies11unroll_baseILi256ESt5arrayIPcLm2EE23TrivialOffsetCalculatorILi1EjESF_NS8_15LoadWithoutCastENS8_16StoreWithoutCastELi4ELi1EEEEEvT0_T1_.has_dyn_sized_stack)
	.set _ZN2at6native29vectorized_elementwise_kernelILi8EZZZNS0_12_GLOBAL__N_130modified_bessel_i1_kernel_cudaERNS_18TensorIteratorBaseEENKUlvE_clEvENKUlvE0_clEvEUlfE_St5arrayIPcLm2EEEEviT0_T1_.has_recursion, or(0, .L_ZN2at6native25elementwise_kernel_helperILb0EZZZNS0_12_GLOBAL__N_130modified_bessel_i1_kernel_cudaERNS_18TensorIteratorBaseEENKUlvE_clEvENKUlvE0_clEvEUlfE_NS0_6memory8policies10vectorizedILi4ESt5arrayIPcLm2EELi4EEEEEvT0_T1_.has_recursion, .L_ZN2at6native25elementwise_kernel_helperILb0EZZZNS0_12_GLOBAL__N_130modified_bessel_i1_kernel_cudaERNS_18TensorIteratorBaseEENKUlvE_clEvENKUlvE0_clEvEUlfE_NS0_6memory8policies11unroll_baseILi256ESt5arrayIPcLm2EE23TrivialOffsetCalculatorILi1EjESF_NS8_15LoadWithoutCastENS8_16StoreWithoutCastELi4ELi1EEEEEvT0_T1_.has_recursion)
	.set _ZN2at6native29vectorized_elementwise_kernelILi8EZZZNS0_12_GLOBAL__N_130modified_bessel_i1_kernel_cudaERNS_18TensorIteratorBaseEENKUlvE_clEvENKUlvE0_clEvEUlfE_St5arrayIPcLm2EEEEviT0_T1_.has_indirect_call, or(0, .L_ZN2at6native25elementwise_kernel_helperILb0EZZZNS0_12_GLOBAL__N_130modified_bessel_i1_kernel_cudaERNS_18TensorIteratorBaseEENKUlvE_clEvENKUlvE0_clEvEUlfE_NS0_6memory8policies10vectorizedILi4ESt5arrayIPcLm2EELi4EEEEEvT0_T1_.has_indirect_call, .L_ZN2at6native25elementwise_kernel_helperILb0EZZZNS0_12_GLOBAL__N_130modified_bessel_i1_kernel_cudaERNS_18TensorIteratorBaseEENKUlvE_clEvENKUlvE0_clEvEUlfE_NS0_6memory8policies11unroll_baseILi256ESt5arrayIPcLm2EE23TrivialOffsetCalculatorILi1EjESF_NS8_15LoadWithoutCastENS8_16StoreWithoutCastELi4ELi1EEEEEvT0_T1_.has_indirect_call)
	.section	.AMDGPU.csdata,"",@progbits
; Kernel info:
; codeLenInByte = 156
; TotalNumSgprs: 39
; NumVgprs: 32
; NumAgprs: 0
; TotalNumVgprs: 32
; ScratchSize: 0
; MemoryBound: 0
; FloatMode: 240
; IeeeMode: 1
; LDSByteSize: 0 bytes/workgroup (compile time only)
; SGPRBlocks: 4
; VGPRBlocks: 3
; NumSGPRsForWavesPerEU: 39
; NumVGPRsForWavesPerEU: 32
; AccumOffset: 32
; Occupancy: 8
; WaveLimiterHint : 0
; COMPUTE_PGM_RSRC2:SCRATCH_EN: 0
; COMPUTE_PGM_RSRC2:USER_SGPR: 2
; COMPUTE_PGM_RSRC2:TRAP_HANDLER: 0
; COMPUTE_PGM_RSRC2:TGID_X_EN: 1
; COMPUTE_PGM_RSRC2:TGID_Y_EN: 0
; COMPUTE_PGM_RSRC2:TGID_Z_EN: 0
; COMPUTE_PGM_RSRC2:TIDIG_COMP_CNT: 0
; COMPUTE_PGM_RSRC3_GFX90A:ACCUM_OFFSET: 7
; COMPUTE_PGM_RSRC3_GFX90A:TG_SPLIT: 0
	.section	.text._ZN2at6native29vectorized_elementwise_kernelILi4EZZZNS0_12_GLOBAL__N_130modified_bessel_i1_kernel_cudaERNS_18TensorIteratorBaseEENKUlvE_clEvENKUlvE0_clEvEUlfE_St5arrayIPcLm2EEEEviT0_T1_,"axG",@progbits,_ZN2at6native29vectorized_elementwise_kernelILi4EZZZNS0_12_GLOBAL__N_130modified_bessel_i1_kernel_cudaERNS_18TensorIteratorBaseEENKUlvE_clEvENKUlvE0_clEvEUlfE_St5arrayIPcLm2EEEEviT0_T1_,comdat
	.globl	_ZN2at6native29vectorized_elementwise_kernelILi4EZZZNS0_12_GLOBAL__N_130modified_bessel_i1_kernel_cudaERNS_18TensorIteratorBaseEENKUlvE_clEvENKUlvE0_clEvEUlfE_St5arrayIPcLm2EEEEviT0_T1_ ; -- Begin function _ZN2at6native29vectorized_elementwise_kernelILi4EZZZNS0_12_GLOBAL__N_130modified_bessel_i1_kernel_cudaERNS_18TensorIteratorBaseEENKUlvE_clEvENKUlvE0_clEvEUlfE_St5arrayIPcLm2EEEEviT0_T1_
	.p2align	8
	.type	_ZN2at6native29vectorized_elementwise_kernelILi4EZZZNS0_12_GLOBAL__N_130modified_bessel_i1_kernel_cudaERNS_18TensorIteratorBaseEENKUlvE_clEvENKUlvE0_clEvEUlfE_St5arrayIPcLm2EEEEviT0_T1_,@function
_ZN2at6native29vectorized_elementwise_kernelILi4EZZZNS0_12_GLOBAL__N_130modified_bessel_i1_kernel_cudaERNS_18TensorIteratorBaseEENKUlvE_clEvENKUlvE0_clEvEUlfE_St5arrayIPcLm2EEEEviT0_T1_: ; @_ZN2at6native29vectorized_elementwise_kernelILi4EZZZNS0_12_GLOBAL__N_130modified_bessel_i1_kernel_cudaERNS_18TensorIteratorBaseEENKUlvE_clEvENKUlvE0_clEvEUlfE_St5arrayIPcLm2EEEEviT0_T1_
; %bb.0:
	s_mov_b32 s12, s2
	s_load_dword s2, s[0:1], 0x0
	s_load_dwordx4 s[8:11], s[0:1], 0x8
	s_lshl_b32 s0, s12, 10
	v_mov_b32_e32 v31, v0
	s_mov_b32 s32, 0
	s_waitcnt lgkmcnt(0)
	s_sub_i32 s13, s2, s0
	s_cmpk_gt_i32 s13, 0x3ff
	s_mov_b64 s[0:1], -1
	s_cbranch_scc1 .LBB14_3
; %bb.1:
	s_andn2_b64 vcc, exec, s[0:1]
	s_cbranch_vccz .LBB14_4
.LBB14_2:
	s_endpgm
.LBB14_3:
	s_getpc_b64 s[0:1]
	s_add_u32 s0, s0, _ZN2at6native25elementwise_kernel_helperILb0EZZZNS0_12_GLOBAL__N_130modified_bessel_i1_kernel_cudaERNS_18TensorIteratorBaseEENKUlvE_clEvENKUlvE0_clEvEUlfE_NS0_6memory8policies10vectorizedILi4ESt5arrayIPcLm2EELi4EEEEEvT0_T1_@rel32@lo+4
	s_addc_u32 s1, s1, _ZN2at6native25elementwise_kernel_helperILb0EZZZNS0_12_GLOBAL__N_130modified_bessel_i1_kernel_cudaERNS_18TensorIteratorBaseEENKUlvE_clEvENKUlvE0_clEvEUlfE_NS0_6memory8policies10vectorizedILi4ESt5arrayIPcLm2EELi4EEEEEvT0_T1_@rel32@hi+12
	v_mov_b32_e32 v0, s8
	v_mov_b32_e32 v1, s9
	;; [unrolled: 1-line block ×4, first 2 shown]
	s_swappc_b64 s[30:31], s[0:1]
	s_cbranch_execnz .LBB14_2
.LBB14_4:
	s_getpc_b64 s[0:1]
	s_add_u32 s0, s0, _ZN2at6native25elementwise_kernel_helperILb0EZZZNS0_12_GLOBAL__N_130modified_bessel_i1_kernel_cudaERNS_18TensorIteratorBaseEENKUlvE_clEvENKUlvE0_clEvEUlfE_NS0_6memory8policies11unroll_baseILi256ESt5arrayIPcLm2EE23TrivialOffsetCalculatorILi1EjESF_NS8_15LoadWithoutCastENS8_16StoreWithoutCastELi4ELi1EEEEEvT0_T1_@rel32@lo+4
	s_addc_u32 s1, s1, _ZN2at6native25elementwise_kernel_helperILb0EZZZNS0_12_GLOBAL__N_130modified_bessel_i1_kernel_cudaERNS_18TensorIteratorBaseEENKUlvE_clEvENKUlvE0_clEvEUlfE_NS0_6memory8policies11unroll_baseILi256ESt5arrayIPcLm2EE23TrivialOffsetCalculatorILi1EjESF_NS8_15LoadWithoutCastENS8_16StoreWithoutCastELi4ELi1EEEEEvT0_T1_@rel32@hi+12
	v_mov_b32_e32 v0, s8
	v_mov_b32_e32 v1, s9
	;; [unrolled: 1-line block ×5, first 2 shown]
	s_swappc_b64 s[30:31], s[0:1]
	s_endpgm
	.section	.rodata,"a",@progbits
	.p2align	6, 0x0
	.amdhsa_kernel _ZN2at6native29vectorized_elementwise_kernelILi4EZZZNS0_12_GLOBAL__N_130modified_bessel_i1_kernel_cudaERNS_18TensorIteratorBaseEENKUlvE_clEvENKUlvE0_clEvEUlfE_St5arrayIPcLm2EEEEviT0_T1_
		.amdhsa_group_segment_fixed_size 0
		.amdhsa_private_segment_fixed_size 0
		.amdhsa_kernarg_size 24
		.amdhsa_user_sgpr_count 2
		.amdhsa_user_sgpr_dispatch_ptr 0
		.amdhsa_user_sgpr_queue_ptr 0
		.amdhsa_user_sgpr_kernarg_segment_ptr 1
		.amdhsa_user_sgpr_dispatch_id 0
		.amdhsa_user_sgpr_kernarg_preload_length 0
		.amdhsa_user_sgpr_kernarg_preload_offset 0
		.amdhsa_user_sgpr_private_segment_size 0
		.amdhsa_uses_dynamic_stack 0
		.amdhsa_enable_private_segment 0
		.amdhsa_system_sgpr_workgroup_id_x 1
		.amdhsa_system_sgpr_workgroup_id_y 0
		.amdhsa_system_sgpr_workgroup_id_z 0
		.amdhsa_system_sgpr_workgroup_info 0
		.amdhsa_system_vgpr_workitem_id 0
		.amdhsa_next_free_vgpr 32
		.amdhsa_next_free_sgpr 33
		.amdhsa_accum_offset 32
		.amdhsa_reserve_vcc 1
		.amdhsa_float_round_mode_32 0
		.amdhsa_float_round_mode_16_64 0
		.amdhsa_float_denorm_mode_32 3
		.amdhsa_float_denorm_mode_16_64 3
		.amdhsa_dx10_clamp 1
		.amdhsa_ieee_mode 1
		.amdhsa_fp16_overflow 0
		.amdhsa_tg_split 0
		.amdhsa_exception_fp_ieee_invalid_op 0
		.amdhsa_exception_fp_denorm_src 0
		.amdhsa_exception_fp_ieee_div_zero 0
		.amdhsa_exception_fp_ieee_overflow 0
		.amdhsa_exception_fp_ieee_underflow 0
		.amdhsa_exception_fp_ieee_inexact 0
		.amdhsa_exception_int_div_zero 0
	.end_amdhsa_kernel
	.section	.text._ZN2at6native29vectorized_elementwise_kernelILi4EZZZNS0_12_GLOBAL__N_130modified_bessel_i1_kernel_cudaERNS_18TensorIteratorBaseEENKUlvE_clEvENKUlvE0_clEvEUlfE_St5arrayIPcLm2EEEEviT0_T1_,"axG",@progbits,_ZN2at6native29vectorized_elementwise_kernelILi4EZZZNS0_12_GLOBAL__N_130modified_bessel_i1_kernel_cudaERNS_18TensorIteratorBaseEENKUlvE_clEvENKUlvE0_clEvEUlfE_St5arrayIPcLm2EEEEviT0_T1_,comdat
.Lfunc_end14:
	.size	_ZN2at6native29vectorized_elementwise_kernelILi4EZZZNS0_12_GLOBAL__N_130modified_bessel_i1_kernel_cudaERNS_18TensorIteratorBaseEENKUlvE_clEvENKUlvE0_clEvEUlfE_St5arrayIPcLm2EEEEviT0_T1_, .Lfunc_end14-_ZN2at6native29vectorized_elementwise_kernelILi4EZZZNS0_12_GLOBAL__N_130modified_bessel_i1_kernel_cudaERNS_18TensorIteratorBaseEENKUlvE_clEvENKUlvE0_clEvEUlfE_St5arrayIPcLm2EEEEviT0_T1_
                                        ; -- End function
	.set _ZN2at6native29vectorized_elementwise_kernelILi4EZZZNS0_12_GLOBAL__N_130modified_bessel_i1_kernel_cudaERNS_18TensorIteratorBaseEENKUlvE_clEvENKUlvE0_clEvEUlfE_St5arrayIPcLm2EEEEviT0_T1_.num_vgpr, max(32, .L_ZN2at6native25elementwise_kernel_helperILb0EZZZNS0_12_GLOBAL__N_130modified_bessel_i1_kernel_cudaERNS_18TensorIteratorBaseEENKUlvE_clEvENKUlvE0_clEvEUlfE_NS0_6memory8policies10vectorizedILi4ESt5arrayIPcLm2EELi4EEEEEvT0_T1_.num_vgpr, .L_ZN2at6native25elementwise_kernel_helperILb0EZZZNS0_12_GLOBAL__N_130modified_bessel_i1_kernel_cudaERNS_18TensorIteratorBaseEENKUlvE_clEvENKUlvE0_clEvEUlfE_NS0_6memory8policies11unroll_baseILi256ESt5arrayIPcLm2EE23TrivialOffsetCalculatorILi1EjESF_NS8_15LoadWithoutCastENS8_16StoreWithoutCastELi4ELi1EEEEEvT0_T1_.num_vgpr)
	.set _ZN2at6native29vectorized_elementwise_kernelILi4EZZZNS0_12_GLOBAL__N_130modified_bessel_i1_kernel_cudaERNS_18TensorIteratorBaseEENKUlvE_clEvENKUlvE0_clEvEUlfE_St5arrayIPcLm2EEEEviT0_T1_.num_agpr, max(0, .L_ZN2at6native25elementwise_kernel_helperILb0EZZZNS0_12_GLOBAL__N_130modified_bessel_i1_kernel_cudaERNS_18TensorIteratorBaseEENKUlvE_clEvENKUlvE0_clEvEUlfE_NS0_6memory8policies10vectorizedILi4ESt5arrayIPcLm2EELi4EEEEEvT0_T1_.num_agpr, .L_ZN2at6native25elementwise_kernel_helperILb0EZZZNS0_12_GLOBAL__N_130modified_bessel_i1_kernel_cudaERNS_18TensorIteratorBaseEENKUlvE_clEvENKUlvE0_clEvEUlfE_NS0_6memory8policies11unroll_baseILi256ESt5arrayIPcLm2EE23TrivialOffsetCalculatorILi1EjESF_NS8_15LoadWithoutCastENS8_16StoreWithoutCastELi4ELi1EEEEEvT0_T1_.num_agpr)
	.set _ZN2at6native29vectorized_elementwise_kernelILi4EZZZNS0_12_GLOBAL__N_130modified_bessel_i1_kernel_cudaERNS_18TensorIteratorBaseEENKUlvE_clEvENKUlvE0_clEvEUlfE_St5arrayIPcLm2EEEEviT0_T1_.numbered_sgpr, max(33, .L_ZN2at6native25elementwise_kernel_helperILb0EZZZNS0_12_GLOBAL__N_130modified_bessel_i1_kernel_cudaERNS_18TensorIteratorBaseEENKUlvE_clEvENKUlvE0_clEvEUlfE_NS0_6memory8policies10vectorizedILi4ESt5arrayIPcLm2EELi4EEEEEvT0_T1_.numbered_sgpr, .L_ZN2at6native25elementwise_kernel_helperILb0EZZZNS0_12_GLOBAL__N_130modified_bessel_i1_kernel_cudaERNS_18TensorIteratorBaseEENKUlvE_clEvENKUlvE0_clEvEUlfE_NS0_6memory8policies11unroll_baseILi256ESt5arrayIPcLm2EE23TrivialOffsetCalculatorILi1EjESF_NS8_15LoadWithoutCastENS8_16StoreWithoutCastELi4ELi1EEEEEvT0_T1_.numbered_sgpr)
	.set _ZN2at6native29vectorized_elementwise_kernelILi4EZZZNS0_12_GLOBAL__N_130modified_bessel_i1_kernel_cudaERNS_18TensorIteratorBaseEENKUlvE_clEvENKUlvE0_clEvEUlfE_St5arrayIPcLm2EEEEviT0_T1_.num_named_barrier, max(0, .L_ZN2at6native25elementwise_kernel_helperILb0EZZZNS0_12_GLOBAL__N_130modified_bessel_i1_kernel_cudaERNS_18TensorIteratorBaseEENKUlvE_clEvENKUlvE0_clEvEUlfE_NS0_6memory8policies10vectorizedILi4ESt5arrayIPcLm2EELi4EEEEEvT0_T1_.num_named_barrier, .L_ZN2at6native25elementwise_kernel_helperILb0EZZZNS0_12_GLOBAL__N_130modified_bessel_i1_kernel_cudaERNS_18TensorIteratorBaseEENKUlvE_clEvENKUlvE0_clEvEUlfE_NS0_6memory8policies11unroll_baseILi256ESt5arrayIPcLm2EE23TrivialOffsetCalculatorILi1EjESF_NS8_15LoadWithoutCastENS8_16StoreWithoutCastELi4ELi1EEEEEvT0_T1_.num_named_barrier)
	.set _ZN2at6native29vectorized_elementwise_kernelILi4EZZZNS0_12_GLOBAL__N_130modified_bessel_i1_kernel_cudaERNS_18TensorIteratorBaseEENKUlvE_clEvENKUlvE0_clEvEUlfE_St5arrayIPcLm2EEEEviT0_T1_.private_seg_size, 0+max(.L_ZN2at6native25elementwise_kernel_helperILb0EZZZNS0_12_GLOBAL__N_130modified_bessel_i1_kernel_cudaERNS_18TensorIteratorBaseEENKUlvE_clEvENKUlvE0_clEvEUlfE_NS0_6memory8policies10vectorizedILi4ESt5arrayIPcLm2EELi4EEEEEvT0_T1_.private_seg_size, .L_ZN2at6native25elementwise_kernel_helperILb0EZZZNS0_12_GLOBAL__N_130modified_bessel_i1_kernel_cudaERNS_18TensorIteratorBaseEENKUlvE_clEvENKUlvE0_clEvEUlfE_NS0_6memory8policies11unroll_baseILi256ESt5arrayIPcLm2EE23TrivialOffsetCalculatorILi1EjESF_NS8_15LoadWithoutCastENS8_16StoreWithoutCastELi4ELi1EEEEEvT0_T1_.private_seg_size)
	.set _ZN2at6native29vectorized_elementwise_kernelILi4EZZZNS0_12_GLOBAL__N_130modified_bessel_i1_kernel_cudaERNS_18TensorIteratorBaseEENKUlvE_clEvENKUlvE0_clEvEUlfE_St5arrayIPcLm2EEEEviT0_T1_.uses_vcc, or(1, .L_ZN2at6native25elementwise_kernel_helperILb0EZZZNS0_12_GLOBAL__N_130modified_bessel_i1_kernel_cudaERNS_18TensorIteratorBaseEENKUlvE_clEvENKUlvE0_clEvEUlfE_NS0_6memory8policies10vectorizedILi4ESt5arrayIPcLm2EELi4EEEEEvT0_T1_.uses_vcc, .L_ZN2at6native25elementwise_kernel_helperILb0EZZZNS0_12_GLOBAL__N_130modified_bessel_i1_kernel_cudaERNS_18TensorIteratorBaseEENKUlvE_clEvENKUlvE0_clEvEUlfE_NS0_6memory8policies11unroll_baseILi256ESt5arrayIPcLm2EE23TrivialOffsetCalculatorILi1EjESF_NS8_15LoadWithoutCastENS8_16StoreWithoutCastELi4ELi1EEEEEvT0_T1_.uses_vcc)
	.set _ZN2at6native29vectorized_elementwise_kernelILi4EZZZNS0_12_GLOBAL__N_130modified_bessel_i1_kernel_cudaERNS_18TensorIteratorBaseEENKUlvE_clEvENKUlvE0_clEvEUlfE_St5arrayIPcLm2EEEEviT0_T1_.uses_flat_scratch, or(0, .L_ZN2at6native25elementwise_kernel_helperILb0EZZZNS0_12_GLOBAL__N_130modified_bessel_i1_kernel_cudaERNS_18TensorIteratorBaseEENKUlvE_clEvENKUlvE0_clEvEUlfE_NS0_6memory8policies10vectorizedILi4ESt5arrayIPcLm2EELi4EEEEEvT0_T1_.uses_flat_scratch, .L_ZN2at6native25elementwise_kernel_helperILb0EZZZNS0_12_GLOBAL__N_130modified_bessel_i1_kernel_cudaERNS_18TensorIteratorBaseEENKUlvE_clEvENKUlvE0_clEvEUlfE_NS0_6memory8policies11unroll_baseILi256ESt5arrayIPcLm2EE23TrivialOffsetCalculatorILi1EjESF_NS8_15LoadWithoutCastENS8_16StoreWithoutCastELi4ELi1EEEEEvT0_T1_.uses_flat_scratch)
	.set _ZN2at6native29vectorized_elementwise_kernelILi4EZZZNS0_12_GLOBAL__N_130modified_bessel_i1_kernel_cudaERNS_18TensorIteratorBaseEENKUlvE_clEvENKUlvE0_clEvEUlfE_St5arrayIPcLm2EEEEviT0_T1_.has_dyn_sized_stack, or(0, .L_ZN2at6native25elementwise_kernel_helperILb0EZZZNS0_12_GLOBAL__N_130modified_bessel_i1_kernel_cudaERNS_18TensorIteratorBaseEENKUlvE_clEvENKUlvE0_clEvEUlfE_NS0_6memory8policies10vectorizedILi4ESt5arrayIPcLm2EELi4EEEEEvT0_T1_.has_dyn_sized_stack, .L_ZN2at6native25elementwise_kernel_helperILb0EZZZNS0_12_GLOBAL__N_130modified_bessel_i1_kernel_cudaERNS_18TensorIteratorBaseEENKUlvE_clEvENKUlvE0_clEvEUlfE_NS0_6memory8policies11unroll_baseILi256ESt5arrayIPcLm2EE23TrivialOffsetCalculatorILi1EjESF_NS8_15LoadWithoutCastENS8_16StoreWithoutCastELi4ELi1EEEEEvT0_T1_.has_dyn_sized_stack)
	.set _ZN2at6native29vectorized_elementwise_kernelILi4EZZZNS0_12_GLOBAL__N_130modified_bessel_i1_kernel_cudaERNS_18TensorIteratorBaseEENKUlvE_clEvENKUlvE0_clEvEUlfE_St5arrayIPcLm2EEEEviT0_T1_.has_recursion, or(0, .L_ZN2at6native25elementwise_kernel_helperILb0EZZZNS0_12_GLOBAL__N_130modified_bessel_i1_kernel_cudaERNS_18TensorIteratorBaseEENKUlvE_clEvENKUlvE0_clEvEUlfE_NS0_6memory8policies10vectorizedILi4ESt5arrayIPcLm2EELi4EEEEEvT0_T1_.has_recursion, .L_ZN2at6native25elementwise_kernel_helperILb0EZZZNS0_12_GLOBAL__N_130modified_bessel_i1_kernel_cudaERNS_18TensorIteratorBaseEENKUlvE_clEvENKUlvE0_clEvEUlfE_NS0_6memory8policies11unroll_baseILi256ESt5arrayIPcLm2EE23TrivialOffsetCalculatorILi1EjESF_NS8_15LoadWithoutCastENS8_16StoreWithoutCastELi4ELi1EEEEEvT0_T1_.has_recursion)
	.set _ZN2at6native29vectorized_elementwise_kernelILi4EZZZNS0_12_GLOBAL__N_130modified_bessel_i1_kernel_cudaERNS_18TensorIteratorBaseEENKUlvE_clEvENKUlvE0_clEvEUlfE_St5arrayIPcLm2EEEEviT0_T1_.has_indirect_call, or(0, .L_ZN2at6native25elementwise_kernel_helperILb0EZZZNS0_12_GLOBAL__N_130modified_bessel_i1_kernel_cudaERNS_18TensorIteratorBaseEENKUlvE_clEvENKUlvE0_clEvEUlfE_NS0_6memory8policies10vectorizedILi4ESt5arrayIPcLm2EELi4EEEEEvT0_T1_.has_indirect_call, .L_ZN2at6native25elementwise_kernel_helperILb0EZZZNS0_12_GLOBAL__N_130modified_bessel_i1_kernel_cudaERNS_18TensorIteratorBaseEENKUlvE_clEvENKUlvE0_clEvEUlfE_NS0_6memory8policies11unroll_baseILi256ESt5arrayIPcLm2EE23TrivialOffsetCalculatorILi1EjESF_NS8_15LoadWithoutCastENS8_16StoreWithoutCastELi4ELi1EEEEEvT0_T1_.has_indirect_call)
	.section	.AMDGPU.csdata,"",@progbits
; Kernel info:
; codeLenInByte = 156
; TotalNumSgprs: 39
; NumVgprs: 32
; NumAgprs: 0
; TotalNumVgprs: 32
; ScratchSize: 0
; MemoryBound: 0
; FloatMode: 240
; IeeeMode: 1
; LDSByteSize: 0 bytes/workgroup (compile time only)
; SGPRBlocks: 4
; VGPRBlocks: 3
; NumSGPRsForWavesPerEU: 39
; NumVGPRsForWavesPerEU: 32
; AccumOffset: 32
; Occupancy: 8
; WaveLimiterHint : 0
; COMPUTE_PGM_RSRC2:SCRATCH_EN: 0
; COMPUTE_PGM_RSRC2:USER_SGPR: 2
; COMPUTE_PGM_RSRC2:TRAP_HANDLER: 0
; COMPUTE_PGM_RSRC2:TGID_X_EN: 1
; COMPUTE_PGM_RSRC2:TGID_Y_EN: 0
; COMPUTE_PGM_RSRC2:TGID_Z_EN: 0
; COMPUTE_PGM_RSRC2:TIDIG_COMP_CNT: 0
; COMPUTE_PGM_RSRC3_GFX90A:ACCUM_OFFSET: 7
; COMPUTE_PGM_RSRC3_GFX90A:TG_SPLIT: 0
	.section	.text._ZN2at6native29vectorized_elementwise_kernelILi2EZZZNS0_12_GLOBAL__N_130modified_bessel_i1_kernel_cudaERNS_18TensorIteratorBaseEENKUlvE_clEvENKUlvE0_clEvEUlfE_St5arrayIPcLm2EEEEviT0_T1_,"axG",@progbits,_ZN2at6native29vectorized_elementwise_kernelILi2EZZZNS0_12_GLOBAL__N_130modified_bessel_i1_kernel_cudaERNS_18TensorIteratorBaseEENKUlvE_clEvENKUlvE0_clEvEUlfE_St5arrayIPcLm2EEEEviT0_T1_,comdat
	.globl	_ZN2at6native29vectorized_elementwise_kernelILi2EZZZNS0_12_GLOBAL__N_130modified_bessel_i1_kernel_cudaERNS_18TensorIteratorBaseEENKUlvE_clEvENKUlvE0_clEvEUlfE_St5arrayIPcLm2EEEEviT0_T1_ ; -- Begin function _ZN2at6native29vectorized_elementwise_kernelILi2EZZZNS0_12_GLOBAL__N_130modified_bessel_i1_kernel_cudaERNS_18TensorIteratorBaseEENKUlvE_clEvENKUlvE0_clEvEUlfE_St5arrayIPcLm2EEEEviT0_T1_
	.p2align	8
	.type	_ZN2at6native29vectorized_elementwise_kernelILi2EZZZNS0_12_GLOBAL__N_130modified_bessel_i1_kernel_cudaERNS_18TensorIteratorBaseEENKUlvE_clEvENKUlvE0_clEvEUlfE_St5arrayIPcLm2EEEEviT0_T1_,@function
_ZN2at6native29vectorized_elementwise_kernelILi2EZZZNS0_12_GLOBAL__N_130modified_bessel_i1_kernel_cudaERNS_18TensorIteratorBaseEENKUlvE_clEvENKUlvE0_clEvEUlfE_St5arrayIPcLm2EEEEviT0_T1_: ; @_ZN2at6native29vectorized_elementwise_kernelILi2EZZZNS0_12_GLOBAL__N_130modified_bessel_i1_kernel_cudaERNS_18TensorIteratorBaseEENKUlvE_clEvENKUlvE0_clEvEUlfE_St5arrayIPcLm2EEEEviT0_T1_
; %bb.0:
	s_load_dword s3, s[0:1], 0x0
	s_load_dwordx4 s[4:7], s[0:1], 0x8
	s_lshl_b32 s0, s2, 10
	s_mov_b64 s[8:9], -1
	s_mov_b32 s32, 0
	s_waitcnt lgkmcnt(0)
	s_sub_i32 s3, s3, s0
	s_cmpk_gt_i32 s3, 0x3ff
	s_cbranch_scc1 .LBB15_3
; %bb.1:
	s_and_b64 vcc, exec, s[8:9]
	s_cbranch_vccnz .LBB15_52
.LBB15_2:
	s_endpgm
.LBB15_3:
	s_ashr_i32 s1, s0, 31
	s_lshl_b64 s[8:9], s[0:1], 2
	s_add_u32 s0, s6, s8
	s_addc_u32 s1, s7, s9
	v_lshlrev_b32_e32 v1, 3, v0
	global_load_dwordx2 v[6:7], v1, s[0:1]
	global_load_dwordx2 v[2:3], v1, s[0:1] offset:2048
	s_mov_b32 s0, 0x41000000
                                        ; implicit-def: $vgpr4
	s_waitcnt vmcnt(1)
	v_cmp_le_f32_e64 s[0:1], |v6|, s0
	s_and_saveexec_b64 s[10:11], s[0:1]
	s_xor_b64 s[10:11], exec, s[10:11]
	s_cbranch_execz .LBB15_9
; %bb.4:
	v_fma_f32 v4, |v6|, 0.5, -2.0
	v_mov_b32_e32 v5, 0xa3c2be86
	v_fmac_f32_e32 v5, 0x224cf950, v4
	v_fmaak_f32 v8, v4, v5, 0xa24cf950
	v_add_f32_e32 v8, 0x25331f1f, v8
	v_fma_f32 v5, v4, v8, -v5
	v_add_f32_e32 v5, 0xa69f5554, v5
	v_fma_f32 v8, v4, v5, -v8
	;; [unrolled: 2-line block ×25, first 2 shown]
	v_add_f32_e32 v5, 0xbe34a688, v5
	s_mov_b32 s0, 0x3fb8aa3b
	v_fma_f32 v4, v4, v5, -v8
	v_mul_f32_e64 v5, |v6|, s0
	v_rndne_f32_e32 v9, v5
	v_sub_f32_e32 v10, v5, v9
	v_fma_f32 v5, |v6|, s0, -v5
	s_mov_b32 s0, 0x32a5705f
	v_fma_f32 v5, |v6|, s0, v5
	v_add_f32_e32 v5, v10, v5
	v_exp_f32_e32 v10, v5
	v_cvt_i32_f32_e32 v9, v9
	v_add_f32_e32 v4, 0x3e81531c, v4
	v_sub_f32_e32 v4, v4, v8
	v_mul_f32_e32 v4, 0.5, v4
	s_mov_b32 s0, 0xc2ce8ed0
	v_mul_f32_e64 v5, |v6|, v4
	v_ldexp_f32 v4, v10, v9
	v_cmp_nlt_f32_e64 s[0:1], |v6|, s0
	v_mov_b32_e32 v8, 0x7f800000
	v_cmp_ngt_f32_e32 vcc, 0, v6
	v_cndmask_b32_e64 v4, 0, v4, s[0:1]
	s_mov_b32 s0, 0x42b17218
	v_cmp_ngt_f32_e64 s[0:1], |v6|, s0
	s_nop 1
	v_cndmask_b32_e64 v8, v8, v4, s[0:1]
                                        ; implicit-def: $vgpr4
	s_and_saveexec_b64 s[0:1], vcc
	s_xor_b64 s[0:1], exec, s[0:1]
; %bb.5:
	v_mul_f32_e32 v4, v8, v5
                                        ; implicit-def: $vgpr8
                                        ; implicit-def: $vgpr5
; %bb.6:
	s_andn2_saveexec_b64 s[0:1], s[0:1]
; %bb.7:
	v_mul_f32_e64 v4, v5, -v8
; %bb.8:
	s_or_b64 exec, exec, s[0:1]
.LBB15_9:
	s_andn2_saveexec_b64 s[10:11], s[10:11]
	s_cbranch_execz .LBB15_15
; %bb.10:
	v_and_b32_e32 v4, 0x7fffffff, v6
	s_mov_b32 s12, 0x42000000
	v_div_scale_f32 v5, s[0:1], v4, v4, s12
	v_rcp_f32_e32 v8, v5
	v_div_scale_f32 v4, vcc, s12, v4, s12
	s_mov_b32 s0, 0x3fb8aa3b
	v_fma_f32 v9, -v5, v8, 1.0
	v_fmac_f32_e32 v8, v9, v8
	v_mul_f32_e32 v9, v4, v8
	v_fma_f32 v10, -v5, v9, v4
	v_fmac_f32_e32 v9, v10, v8
	v_fma_f32 v4, -v5, v9, v4
	v_div_fmas_f32 v4, v4, v8, v9
	v_div_fixup_f32 v4, v4, |v6|, s12
	v_add_f32_e32 v4, -2.0, v4
	v_mov_b32_e32 v5, 0x22a2dc57
	v_fmac_f32_e32 v5, 0x230aab6e, v4
	v_fmaak_f32 v8, v4, v5, 0xa30aab6e
	v_add_f32_e32 v8, 0xa456751e, v8
	v_fma_f32 v5, v4, v8, -v5
	v_add_f32_e32 v5, 0xa4140365, v5
	v_fma_f32 v8, v4, v5, -v8
	;; [unrolled: 2-line block ×17, first 2 shown]
	v_add_f32_e32 v5, 0xb2e20a9d, v5
	v_mul_f32_e64 v9, |v6|, s0
	v_fma_f32 v8, v4, v5, -v8
	v_rndne_f32_e32 v10, v9
	v_add_f32_e32 v8, 0xb486dfe9, v8
	v_sub_f32_e32 v11, v9, v10
	v_fma_f32 v9, |v6|, s0, -v9
	s_mov_b32 s0, 0x32a5705f
	v_fma_f32 v5, v4, v8, -v5
	v_fma_f32 v9, |v6|, s0, v9
	v_add_f32_e32 v5, 0xb68246fa, v5
	v_add_f32_e32 v9, v11, v9
	v_fma_f32 v8, v4, v5, -v8
	v_exp_f32_e32 v9, v9
	v_cvt_i32_f32_e32 v10, v10
	v_add_f32_e32 v8, 0xb8e7ebfc, v8
	v_fma_f32 v5, v4, v8, -v5
	v_add_f32_e32 v5, 0xbc1fed03, v5
	s_mov_b32 s0, 0xc2ce8ed0
	v_fma_f32 v4, v4, v5, -v8
	v_ldexp_f32 v5, v9, v10
	v_cmp_nlt_f32_e64 s[0:1], |v6|, s0
	v_add_f32_e32 v4, 0x3f4750c6, v4
	v_mov_b32_e32 v9, 0x7f800000
	v_cndmask_b32_e64 v5, 0, v5, s[0:1]
	s_mov_b32 s0, 0x42b17218
	v_cmp_ngt_f32_e64 s[0:1], |v6|, s0
	v_cmp_ngt_f32_e32 vcc, 0, v6
	v_sub_f32_e32 v8, v4, v8
	v_cndmask_b32_e64 v5, v9, v5, s[0:1]
                                        ; implicit-def: $vgpr4
	s_and_saveexec_b64 s[0:1], vcc
	s_xor_b64 s[12:13], exec, s[0:1]
	s_cbranch_execz .LBB15_12
; %bb.11:
	s_mov_b32 s0, 0xf800000
	s_mov_b32 s1, 0x4f800000
	v_mul_f32_e64 v4, |v6|, s1
	v_cmp_lt_f32_e64 vcc, |v6|, s0
	v_mul_f32_e32 v8, 0.5, v8
	v_mul_f32_e32 v5, v5, v8
	v_cndmask_b32_e64 v4, |v6|, v4, vcc
	v_sqrt_f32_e32 v9, v4
	s_nop 0
	v_add_u32_e32 v8, -1, v9
	v_fma_f32 v10, -v8, v9, v4
	v_cmp_ge_f32_e64 s[0:1], 0, v10
	v_add_u32_e32 v10, 1, v9
	s_nop 0
	v_cndmask_b32_e64 v8, v9, v8, s[0:1]
	v_fma_f32 v9, -v10, v9, v4
	v_cmp_lt_f32_e64 s[0:1], 0, v9
	s_nop 1
	v_cndmask_b32_e64 v8, v8, v10, s[0:1]
	v_mul_f32_e32 v9, 0x37800000, v8
	v_cndmask_b32_e32 v8, v8, v9, vcc
	v_mov_b32_e32 v9, 0x260
	v_cmp_class_f32_e32 vcc, v4, v9
	s_nop 1
	v_cndmask_b32_e32 v4, v8, v4, vcc
	v_div_scale_f32 v8, s[0:1], v4, v4, v5
	v_rcp_f32_e32 v9, v8
	s_nop 0
	v_fma_f32 v10, -v8, v9, 1.0
	v_fmac_f32_e32 v9, v10, v9
	v_div_scale_f32 v10, vcc, v5, v4, v5
	v_mul_f32_e32 v11, v10, v9
	v_fma_f32 v12, -v8, v11, v10
	v_fmac_f32_e32 v11, v12, v9
	v_fma_f32 v8, -v8, v11, v10
	v_div_fmas_f32 v8, v8, v9, v11
	v_div_fixup_f32 v4, v8, v4, v5
                                        ; implicit-def: $vgpr8
                                        ; implicit-def: $vgpr5
.LBB15_12:
	s_andn2_saveexec_b64 s[12:13], s[12:13]
	s_cbranch_execz .LBB15_14
; %bb.13:
	s_mov_b32 s0, 0xf800000
	s_mov_b32 s1, 0x4f800000
	v_mul_f32_e64 v4, |v6|, s1
	v_cmp_lt_f32_e64 vcc, |v6|, s0
	s_nop 1
	v_cndmask_b32_e64 v4, |v6|, v4, vcc
	v_sqrt_f32_e32 v6, v4
	s_nop 0
	v_add_u32_e32 v9, -1, v6
	v_fma_f32 v10, -v9, v6, v4
	v_cmp_ge_f32_e64 s[0:1], 0, v10
	v_add_u32_e32 v10, 1, v6
	s_nop 0
	v_cndmask_b32_e64 v9, v6, v9, s[0:1]
	v_fma_f32 v6, -v10, v6, v4
	v_cmp_lt_f32_e64 s[0:1], 0, v6
	s_nop 1
	v_cndmask_b32_e64 v6, v9, v10, s[0:1]
	v_mul_f32_e32 v9, 0x37800000, v6
	v_cndmask_b32_e32 v6, v6, v9, vcc
	v_mov_b32_e32 v9, 0x260
	v_cmp_class_f32_e32 vcc, v4, v9
	s_nop 1
	v_cndmask_b32_e32 v4, v6, v4, vcc
	v_mul_f32_e32 v6, -0.5, v8
	v_mul_f32_e32 v5, v5, v6
	v_div_scale_f32 v6, s[0:1], v4, v4, v5
	v_rcp_f32_e32 v8, v6
	s_nop 0
	v_fma_f32 v9, -v6, v8, 1.0
	v_fmac_f32_e32 v8, v9, v8
	v_div_scale_f32 v9, vcc, v5, v4, v5
	v_mul_f32_e32 v10, v9, v8
	v_fma_f32 v11, -v6, v10, v9
	v_fmac_f32_e32 v10, v11, v8
	v_fma_f32 v6, -v6, v10, v9
	v_div_fmas_f32 v6, v6, v8, v10
	v_div_fixup_f32 v4, v6, v4, v5
.LBB15_14:
	s_or_b64 exec, exec, s[12:13]
.LBB15_15:
	s_or_b64 exec, exec, s[10:11]
	s_mov_b32 s0, 0x41000000
	v_cmp_le_f32_e64 s[0:1], |v7|, s0
	s_and_saveexec_b64 s[10:11], s[0:1]
	s_xor_b64 s[10:11], exec, s[10:11]
	s_cbranch_execz .LBB15_21
; %bb.16:
	v_fma_f32 v5, |v7|, 0.5, -2.0
	v_mov_b32_e32 v6, 0xa3c2be86
	v_fmac_f32_e32 v6, 0x224cf950, v5
	v_fmaak_f32 v8, v5, v6, 0xa24cf950
	v_add_f32_e32 v8, 0x25331f1f, v8
	v_fma_f32 v6, v5, v8, -v6
	v_add_f32_e32 v6, 0xa69f5554, v6
	v_fma_f32 v8, v5, v6, -v8
	;; [unrolled: 2-line block ×25, first 2 shown]
	v_add_f32_e32 v6, 0xbe34a688, v6
	s_mov_b32 s0, 0x3fb8aa3b
	v_fma_f32 v5, v5, v6, -v8
	v_mul_f32_e64 v6, |v7|, s0
	v_rndne_f32_e32 v9, v6
	v_sub_f32_e32 v10, v6, v9
	v_fma_f32 v6, |v7|, s0, -v6
	s_mov_b32 s0, 0x32a5705f
	v_fma_f32 v6, |v7|, s0, v6
	v_add_f32_e32 v6, v10, v6
	v_exp_f32_e32 v10, v6
	v_cvt_i32_f32_e32 v9, v9
	v_add_f32_e32 v5, 0x3e81531c, v5
	v_sub_f32_e32 v5, v5, v8
	v_mul_f32_e32 v5, 0.5, v5
	s_mov_b32 s0, 0xc2ce8ed0
	v_mul_f32_e64 v6, |v7|, v5
	v_ldexp_f32 v5, v10, v9
	v_cmp_nlt_f32_e64 s[0:1], |v7|, s0
	v_mov_b32_e32 v8, 0x7f800000
	v_cmp_ngt_f32_e32 vcc, 0, v7
	v_cndmask_b32_e64 v5, 0, v5, s[0:1]
	s_mov_b32 s0, 0x42b17218
	v_cmp_ngt_f32_e64 s[0:1], |v7|, s0
	s_nop 1
	v_cndmask_b32_e64 v7, v8, v5, s[0:1]
	s_and_saveexec_b64 s[0:1], vcc
	s_xor_b64 s[0:1], exec, s[0:1]
; %bb.17:
	v_mul_f32_e32 v5, v7, v6
                                        ; implicit-def: $vgpr7
                                        ; implicit-def: $vgpr6
; %bb.18:
	s_andn2_saveexec_b64 s[0:1], s[0:1]
; %bb.19:
	v_mul_f32_e64 v5, v6, -v7
; %bb.20:
	s_or_b64 exec, exec, s[0:1]
                                        ; implicit-def: $vgpr6_vgpr7
.LBB15_21:
	s_andn2_saveexec_b64 s[10:11], s[10:11]
	s_cbranch_execz .LBB15_27
; %bb.22:
	v_and_b32_e32 v5, 0x7fffffff, v7
	s_mov_b32 s12, 0x42000000
	v_div_scale_f32 v6, s[0:1], v5, v5, s12
	v_rcp_f32_e32 v8, v6
	v_div_scale_f32 v5, vcc, s12, v5, s12
	s_mov_b32 s0, 0x3fb8aa3b
	v_fma_f32 v9, -v6, v8, 1.0
	v_fmac_f32_e32 v8, v9, v8
	v_mul_f32_e32 v9, v5, v8
	v_fma_f32 v10, -v6, v9, v5
	v_fmac_f32_e32 v9, v10, v8
	v_fma_f32 v5, -v6, v9, v5
	v_div_fmas_f32 v5, v5, v8, v9
	v_div_fixup_f32 v5, v5, |v7|, s12
	v_add_f32_e32 v5, -2.0, v5
	v_mov_b32_e32 v6, 0x22a2dc57
	v_fmac_f32_e32 v6, 0x230aab6e, v5
	v_fmaak_f32 v8, v5, v6, 0xa30aab6e
	v_add_f32_e32 v8, 0xa456751e, v8
	v_fma_f32 v6, v5, v8, -v6
	v_add_f32_e32 v6, 0xa4140365, v6
	v_fma_f32 v8, v5, v6, -v8
	v_add_f32_e32 v8, 0x25aac8b0, v8
	v_fma_f32 v6, v5, v8, -v6
	v_add_f32_e32 v6, 0x25beb473, v6
	v_fma_f32 v8, v5, v6, -v8
	v_add_f32_e32 v8, 0xa7077e6c, v8
	v_fma_f32 v6, v5, v8, -v6
	v_add_f32_e32 v6, 0xa7896da9, v6
	v_fma_f32 v8, v5, v6, -v8
	v_add_f32_e32 v8, 0x283bb70c, v8
	v_fma_f32 v6, v5, v8, -v6
	v_add_f32_e32 v6, 0x294069e1, v6
	v_fma_f32 v8, v5, v6, -v8
	v_add_f32_e32 v8, 0xa8bd4a41, v8
	v_fma_f32 v6, v5, v8, -v6
	v_add_f32_e32 v6, 0xaae5e22c, v6
	v_fma_f32 v8, v5, v6, -v8
	v_add_f32_e32 v8, 0xab4a9f08, v8
	v_fma_f32 v6, v5, v8, -v6
	v_add_f32_e32 v6, 0x2c0f3ea0, v6
	v_fma_f32 v8, v5, v6, -v8
	v_add_f32_e32 v8, 0x2d7880fb, v8
	v_fma_f32 v6, v5, v8, -v6
	v_add_f32_e32 v6, 0x2e0f0d10, v6
	v_fma_f32 v8, v5, v6, -v8
	v_add_f32_e32 v8, 0xada6e7cf, v8
	v_fma_f32 v6, v5, v8, -v6
	v_add_f32_e32 v6, 0xb019a653, v6
	v_fma_f32 v8, v5, v6, -v8
	v_add_f32_e32 v8, 0xb183c85d, v8
	v_fma_f32 v6, v5, v8, -v6
	v_add_f32_e32 v6, 0xb2e20a9d, v6
	v_mul_f32_e64 v9, |v7|, s0
	v_fma_f32 v8, v5, v6, -v8
	v_rndne_f32_e32 v10, v9
	v_add_f32_e32 v8, 0xb486dfe9, v8
	v_sub_f32_e32 v11, v9, v10
	v_fma_f32 v9, |v7|, s0, -v9
	s_mov_b32 s0, 0x32a5705f
	v_fma_f32 v6, v5, v8, -v6
	v_fma_f32 v9, |v7|, s0, v9
	v_add_f32_e32 v6, 0xb68246fa, v6
	v_add_f32_e32 v9, v11, v9
	v_fma_f32 v8, v5, v6, -v8
	v_exp_f32_e32 v9, v9
	v_cvt_i32_f32_e32 v10, v10
	v_add_f32_e32 v8, 0xb8e7ebfc, v8
	v_fma_f32 v6, v5, v8, -v6
	v_add_f32_e32 v6, 0xbc1fed03, v6
	s_mov_b32 s0, 0xc2ce8ed0
	v_fma_f32 v5, v5, v6, -v8
	v_ldexp_f32 v6, v9, v10
	v_cmp_nlt_f32_e64 s[0:1], |v7|, s0
	v_add_f32_e32 v5, 0x3f4750c6, v5
	v_mov_b32_e32 v9, 0x7f800000
	v_cndmask_b32_e64 v6, 0, v6, s[0:1]
	s_mov_b32 s0, 0x42b17218
	v_cmp_ngt_f32_e64 s[0:1], |v7|, s0
	v_cmp_ngt_f32_e32 vcc, 0, v7
	v_sub_f32_e32 v8, v5, v8
	v_cndmask_b32_e64 v6, v9, v6, s[0:1]
	s_and_saveexec_b64 s[0:1], vcc
	s_xor_b64 s[12:13], exec, s[0:1]
	s_cbranch_execz .LBB15_24
; %bb.23:
	s_mov_b32 s0, 0xf800000
	s_mov_b32 s1, 0x4f800000
	v_mul_f32_e64 v5, |v7|, s1
	v_cmp_lt_f32_e64 vcc, |v7|, s0
	v_mul_f32_e32 v8, 0.5, v8
	v_mul_f32_e32 v6, v6, v8
	v_cndmask_b32_e64 v5, |v7|, v5, vcc
	v_sqrt_f32_e32 v7, v5
	s_nop 0
	v_add_u32_e32 v8, -1, v7
	v_fma_f32 v9, -v8, v7, v5
	v_cmp_ge_f32_e64 s[0:1], 0, v9
	v_add_u32_e32 v9, 1, v7
	s_nop 0
	v_cndmask_b32_e64 v8, v7, v8, s[0:1]
	v_fma_f32 v7, -v9, v7, v5
	v_cmp_lt_f32_e64 s[0:1], 0, v7
	s_nop 1
	v_cndmask_b32_e64 v7, v8, v9, s[0:1]
	v_mul_f32_e32 v8, 0x37800000, v7
	v_cndmask_b32_e32 v7, v7, v8, vcc
	v_mov_b32_e32 v8, 0x260
	v_cmp_class_f32_e32 vcc, v5, v8
	s_nop 1
	v_cndmask_b32_e32 v5, v7, v5, vcc
	v_div_scale_f32 v7, s[0:1], v5, v5, v6
	v_rcp_f32_e32 v8, v7
	s_nop 0
	v_fma_f32 v9, -v7, v8, 1.0
	v_fmac_f32_e32 v8, v9, v8
	v_div_scale_f32 v9, vcc, v6, v5, v6
	v_mul_f32_e32 v10, v9, v8
	v_fma_f32 v11, -v7, v10, v9
	v_fmac_f32_e32 v10, v11, v8
	v_fma_f32 v7, -v7, v10, v9
	v_div_fmas_f32 v7, v7, v8, v10
	v_div_fixup_f32 v5, v7, v5, v6
                                        ; implicit-def: $vgpr6_vgpr7
                                        ; implicit-def: $vgpr8
                                        ; implicit-def: $vgpr6
.LBB15_24:
	s_andn2_saveexec_b64 s[12:13], s[12:13]
	s_cbranch_execz .LBB15_26
; %bb.25:
	s_mov_b32 s0, 0xf800000
	s_mov_b32 s1, 0x4f800000
	v_mul_f32_e64 v5, |v7|, s1
	v_cmp_lt_f32_e64 vcc, |v7|, s0
	s_nop 1
	v_cndmask_b32_e64 v5, |v7|, v5, vcc
	v_sqrt_f32_e32 v7, v5
	s_nop 0
	v_add_u32_e32 v9, -1, v7
	v_fma_f32 v10, -v9, v7, v5
	v_cmp_ge_f32_e64 s[0:1], 0, v10
	v_add_u32_e32 v10, 1, v7
	s_nop 0
	v_cndmask_b32_e64 v9, v7, v9, s[0:1]
	v_fma_f32 v7, -v10, v7, v5
	v_cmp_lt_f32_e64 s[0:1], 0, v7
	s_nop 1
	v_cndmask_b32_e64 v7, v9, v10, s[0:1]
	v_mul_f32_e32 v9, 0x37800000, v7
	v_cndmask_b32_e32 v7, v7, v9, vcc
	v_mov_b32_e32 v9, 0x260
	v_cmp_class_f32_e32 vcc, v5, v9
	s_nop 1
	v_cndmask_b32_e32 v5, v7, v5, vcc
	v_mul_f32_e32 v7, -0.5, v8
	v_mul_f32_e32 v6, v6, v7
	v_div_scale_f32 v7, s[0:1], v5, v5, v6
	v_rcp_f32_e32 v8, v7
	s_nop 0
	v_fma_f32 v9, -v7, v8, 1.0
	v_fmac_f32_e32 v8, v9, v8
	v_div_scale_f32 v9, vcc, v6, v5, v6
	v_mul_f32_e32 v10, v9, v8
	v_fma_f32 v11, -v7, v10, v9
	v_fmac_f32_e32 v10, v11, v8
	v_fma_f32 v7, -v7, v10, v9
	v_div_fmas_f32 v7, v7, v8, v10
	v_div_fixup_f32 v5, v7, v5, v6
.LBB15_26:
	s_or_b64 exec, exec, s[12:13]
.LBB15_27:
	s_or_b64 exec, exec, s[10:11]
	s_mov_b32 s0, 0x41000000
	s_waitcnt vmcnt(0)
	v_cmp_le_f32_e64 s[0:1], |v2|, s0
                                        ; implicit-def: $vgpr6
	s_and_saveexec_b64 s[10:11], s[0:1]
	s_xor_b64 s[10:11], exec, s[10:11]
	s_cbranch_execz .LBB15_33
; %bb.28:
	v_fma_f32 v6, |v2|, 0.5, -2.0
	v_mov_b32_e32 v7, 0xa3c2be86
	v_fmac_f32_e32 v7, 0x224cf950, v6
	v_fmaak_f32 v8, v6, v7, 0xa24cf950
	v_add_f32_e32 v8, 0x25331f1f, v8
	v_fma_f32 v7, v6, v8, -v7
	v_add_f32_e32 v7, 0xa69f5554, v7
	v_fma_f32 v8, v6, v7, -v8
	;; [unrolled: 2-line block ×25, first 2 shown]
	v_add_f32_e32 v7, 0xbe34a688, v7
	s_mov_b32 s0, 0x3fb8aa3b
	v_fma_f32 v6, v6, v7, -v8
	v_mul_f32_e64 v7, |v2|, s0
	v_rndne_f32_e32 v9, v7
	v_sub_f32_e32 v10, v7, v9
	v_fma_f32 v7, |v2|, s0, -v7
	s_mov_b32 s0, 0x32a5705f
	v_fma_f32 v7, |v2|, s0, v7
	v_add_f32_e32 v7, v10, v7
	v_exp_f32_e32 v10, v7
	v_cvt_i32_f32_e32 v9, v9
	v_add_f32_e32 v6, 0x3e81531c, v6
	v_sub_f32_e32 v6, v6, v8
	v_mul_f32_e32 v6, 0.5, v6
	s_mov_b32 s0, 0xc2ce8ed0
	v_mul_f32_e64 v7, |v2|, v6
	v_ldexp_f32 v6, v10, v9
	v_cmp_nlt_f32_e64 s[0:1], |v2|, s0
	v_mov_b32_e32 v8, 0x7f800000
	v_cmp_ngt_f32_e32 vcc, 0, v2
	v_cndmask_b32_e64 v6, 0, v6, s[0:1]
	s_mov_b32 s0, 0x42b17218
	v_cmp_ngt_f32_e64 s[0:1], |v2|, s0
	s_nop 1
	v_cndmask_b32_e64 v8, v8, v6, s[0:1]
                                        ; implicit-def: $vgpr6
	s_and_saveexec_b64 s[0:1], vcc
	s_xor_b64 s[0:1], exec, s[0:1]
; %bb.29:
	v_mul_f32_e32 v6, v8, v7
                                        ; implicit-def: $vgpr8
                                        ; implicit-def: $vgpr7
; %bb.30:
	s_andn2_saveexec_b64 s[0:1], s[0:1]
; %bb.31:
	v_mul_f32_e64 v6, v7, -v8
; %bb.32:
	s_or_b64 exec, exec, s[0:1]
.LBB15_33:
	s_andn2_saveexec_b64 s[10:11], s[10:11]
	s_cbranch_execz .LBB15_39
; %bb.34:
	v_and_b32_e32 v6, 0x7fffffff, v2
	s_mov_b32 s12, 0x42000000
	v_div_scale_f32 v7, s[0:1], v6, v6, s12
	v_rcp_f32_e32 v8, v7
	v_div_scale_f32 v6, vcc, s12, v6, s12
	s_mov_b32 s0, 0x3fb8aa3b
	v_fma_f32 v9, -v7, v8, 1.0
	v_fmac_f32_e32 v8, v9, v8
	v_mul_f32_e32 v9, v6, v8
	v_fma_f32 v10, -v7, v9, v6
	v_fmac_f32_e32 v9, v10, v8
	v_fma_f32 v6, -v7, v9, v6
	v_div_fmas_f32 v6, v6, v8, v9
	v_div_fixup_f32 v6, v6, |v2|, s12
	v_add_f32_e32 v6, -2.0, v6
	v_mov_b32_e32 v7, 0x22a2dc57
	v_fmac_f32_e32 v7, 0x230aab6e, v6
	v_fmaak_f32 v8, v6, v7, 0xa30aab6e
	v_add_f32_e32 v8, 0xa456751e, v8
	v_fma_f32 v7, v6, v8, -v7
	v_add_f32_e32 v7, 0xa4140365, v7
	v_fma_f32 v8, v6, v7, -v8
	;; [unrolled: 2-line block ×17, first 2 shown]
	v_add_f32_e32 v7, 0xb2e20a9d, v7
	v_mul_f32_e64 v9, |v2|, s0
	v_fma_f32 v8, v6, v7, -v8
	v_rndne_f32_e32 v10, v9
	v_add_f32_e32 v8, 0xb486dfe9, v8
	v_sub_f32_e32 v11, v9, v10
	v_fma_f32 v9, |v2|, s0, -v9
	s_mov_b32 s0, 0x32a5705f
	v_fma_f32 v7, v6, v8, -v7
	v_fma_f32 v9, |v2|, s0, v9
	v_add_f32_e32 v7, 0xb68246fa, v7
	v_add_f32_e32 v9, v11, v9
	v_fma_f32 v8, v6, v7, -v8
	v_exp_f32_e32 v9, v9
	v_cvt_i32_f32_e32 v10, v10
	v_add_f32_e32 v8, 0xb8e7ebfc, v8
	v_fma_f32 v7, v6, v8, -v7
	v_add_f32_e32 v7, 0xbc1fed03, v7
	s_mov_b32 s0, 0xc2ce8ed0
	v_fma_f32 v6, v6, v7, -v8
	v_ldexp_f32 v7, v9, v10
	v_cmp_nlt_f32_e64 s[0:1], |v2|, s0
	v_add_f32_e32 v6, 0x3f4750c6, v6
	v_mov_b32_e32 v9, 0x7f800000
	v_cndmask_b32_e64 v7, 0, v7, s[0:1]
	s_mov_b32 s0, 0x42b17218
	v_cmp_ngt_f32_e64 s[0:1], |v2|, s0
	v_cmp_ngt_f32_e32 vcc, 0, v2
	v_sub_f32_e32 v8, v6, v8
	v_cndmask_b32_e64 v7, v9, v7, s[0:1]
                                        ; implicit-def: $vgpr6
	s_and_saveexec_b64 s[0:1], vcc
	s_xor_b64 s[12:13], exec, s[0:1]
	s_cbranch_execz .LBB15_36
; %bb.35:
	s_mov_b32 s0, 0xf800000
	s_mov_b32 s1, 0x4f800000
	v_mul_f32_e64 v6, |v2|, s1
	v_cmp_lt_f32_e64 vcc, |v2|, s0
	v_mul_f32_e32 v8, 0.5, v8
	v_mul_f32_e32 v7, v7, v8
	v_cndmask_b32_e64 v6, |v2|, v6, vcc
	v_sqrt_f32_e32 v9, v6
	s_nop 0
	v_add_u32_e32 v8, -1, v9
	v_fma_f32 v10, -v8, v9, v6
	v_cmp_ge_f32_e64 s[0:1], 0, v10
	v_add_u32_e32 v10, 1, v9
	s_nop 0
	v_cndmask_b32_e64 v8, v9, v8, s[0:1]
	v_fma_f32 v9, -v10, v9, v6
	v_cmp_lt_f32_e64 s[0:1], 0, v9
	s_nop 1
	v_cndmask_b32_e64 v8, v8, v10, s[0:1]
	v_mul_f32_e32 v9, 0x37800000, v8
	v_cndmask_b32_e32 v8, v8, v9, vcc
	v_mov_b32_e32 v9, 0x260
	v_cmp_class_f32_e32 vcc, v6, v9
	s_nop 1
	v_cndmask_b32_e32 v6, v8, v6, vcc
	v_div_scale_f32 v8, s[0:1], v6, v6, v7
	v_rcp_f32_e32 v9, v8
	s_nop 0
	v_fma_f32 v10, -v8, v9, 1.0
	v_fmac_f32_e32 v9, v10, v9
	v_div_scale_f32 v10, vcc, v7, v6, v7
	v_mul_f32_e32 v11, v10, v9
	v_fma_f32 v12, -v8, v11, v10
	v_fmac_f32_e32 v11, v12, v9
	v_fma_f32 v8, -v8, v11, v10
	v_div_fmas_f32 v8, v8, v9, v11
	v_div_fixup_f32 v6, v8, v6, v7
                                        ; implicit-def: $vgpr8
                                        ; implicit-def: $vgpr7
.LBB15_36:
	s_andn2_saveexec_b64 s[12:13], s[12:13]
	s_cbranch_execz .LBB15_38
; %bb.37:
	s_mov_b32 s0, 0xf800000
	s_mov_b32 s1, 0x4f800000
	v_mul_f32_e64 v6, |v2|, s1
	v_cmp_lt_f32_e64 vcc, |v2|, s0
	s_nop 1
	v_cndmask_b32_e64 v2, |v2|, v6, vcc
	v_sqrt_f32_e32 v6, v2
	s_nop 0
	v_add_u32_e32 v9, -1, v6
	v_fma_f32 v10, -v9, v6, v2
	v_cmp_ge_f32_e64 s[0:1], 0, v10
	v_add_u32_e32 v10, 1, v6
	s_nop 0
	v_cndmask_b32_e64 v9, v6, v9, s[0:1]
	v_fma_f32 v6, -v10, v6, v2
	v_cmp_lt_f32_e64 s[0:1], 0, v6
	s_nop 1
	v_cndmask_b32_e64 v6, v9, v10, s[0:1]
	v_mul_f32_e32 v9, 0x37800000, v6
	v_cndmask_b32_e32 v6, v6, v9, vcc
	v_mov_b32_e32 v9, 0x260
	v_cmp_class_f32_e32 vcc, v2, v9
	s_nop 1
	v_cndmask_b32_e32 v2, v6, v2, vcc
	v_mul_f32_e32 v6, -0.5, v8
	v_mul_f32_e32 v6, v7, v6
	v_div_scale_f32 v7, s[0:1], v2, v2, v6
	v_rcp_f32_e32 v8, v7
	s_nop 0
	v_fma_f32 v9, -v7, v8, 1.0
	v_fmac_f32_e32 v8, v9, v8
	v_div_scale_f32 v9, vcc, v6, v2, v6
	v_mul_f32_e32 v10, v9, v8
	v_fma_f32 v11, -v7, v10, v9
	v_fmac_f32_e32 v10, v11, v8
	v_fma_f32 v7, -v7, v10, v9
	v_div_fmas_f32 v7, v7, v8, v10
	v_div_fixup_f32 v6, v7, v2, v6
.LBB15_38:
	s_or_b64 exec, exec, s[12:13]
.LBB15_39:
	s_or_b64 exec, exec, s[10:11]
	s_mov_b32 s0, 0x41000000
	v_cmp_le_f32_e64 s[0:1], |v3|, s0
	s_and_saveexec_b64 s[10:11], s[0:1]
	s_xor_b64 s[10:11], exec, s[10:11]
	s_cbranch_execz .LBB15_45
; %bb.40:
	v_fma_f32 v2, |v3|, 0.5, -2.0
	v_mov_b32_e32 v7, 0xa3c2be86
	v_fmac_f32_e32 v7, 0x224cf950, v2
	v_fmaak_f32 v8, v2, v7, 0xa24cf950
	v_add_f32_e32 v8, 0x25331f1f, v8
	v_fma_f32 v7, v2, v8, -v7
	v_add_f32_e32 v7, 0xa69f5554, v7
	v_fma_f32 v8, v2, v7, -v8
	v_add_f32_e32 v8, 0x2808ebf8, v8
	v_fma_f32 v7, v2, v8, -v7
	v_add_f32_e32 v7, 0xa9631471, v7
	v_fma_f32 v8, v2, v7, -v8
	v_add_f32_e32 v8, 0x2ab57bc2, v8
	v_fma_f32 v7, v2, v8, -v7
	v_add_f32_e32 v7, 0xac0b9c1b, v7
	v_fma_f32 v8, v2, v7, -v8
	v_add_f32_e32 v8, 0x2d4e7716, v8
	v_fma_f32 v7, v2, v8, -v7
	v_add_f32_e32 v7, 0xae92881d, v7
	v_fma_f32 v8, v2, v7, -v8
	v_add_f32_e32 v8, 0x2fc751a6, v8
	v_fma_f32 v7, v2, v8, -v7
	v_add_f32_e32 v7, 0xb101b0d9, v7
	v_fma_f32 v8, v2, v7, -v8
	v_add_f32_e32 v8, 0x32212c70, v8
	v_fma_f32 v7, v2, v8, -v7
	v_add_f32_e32 v7, 0xb33ee9f1, v7
	v_fma_f32 v8, v2, v7, -v8
	v_add_f32_e32 v8, 0x34571a26, v8
	v_fma_f32 v7, v2, v8, -v7
	v_add_f32_e32 v7, 0xb56603cc, v7
	v_fma_f32 v8, v2, v7, -v8
	v_add_f32_e32 v8, 0x3668e277, v8
	v_fma_f32 v7, v2, v8, -v7
	v_add_f32_e32 v7, 0xb75eafce, v7
	v_fma_f32 v8, v2, v7, -v8
	v_add_f32_e32 v8, 0x38488daa, v8
	v_fma_f32 v7, v2, v8, -v7
	v_add_f32_e32 v7, 0xb9299e57, v7
	v_fma_f32 v8, v2, v7, -v8
	v_add_f32_e32 v8, 0x3a064aee, v8
	v_fma_f32 v7, v2, v8, -v7
	v_add_f32_e32 v7, 0xbac66310, v7
	v_fma_f32 v8, v2, v7, -v8
	v_add_f32_e32 v8, 0x3b88329a, v8
	v_fma_f32 v7, v2, v8, -v7
	v_add_f32_e32 v7, 0xbc2d14fc, v7
	v_fma_f32 v8, v2, v7, -v8
	v_add_f32_e32 v8, 0x3cca8f1f, v8
	v_fma_f32 v7, v2, v8, -v7
	v_add_f32_e32 v7, 0xbd58dde3, v7
	v_fma_f32 v8, v2, v7, -v8
	v_add_f32_e32 v8, 0x3dd236d7, v8
	v_fma_f32 v7, v2, v8, -v7
	v_add_f32_e32 v7, 0xbe34a688, v7
	s_mov_b32 s0, 0x3fb8aa3b
	v_fma_f32 v2, v2, v7, -v8
	v_mul_f32_e64 v7, |v3|, s0
	v_rndne_f32_e32 v9, v7
	v_sub_f32_e32 v10, v7, v9
	v_fma_f32 v7, |v3|, s0, -v7
	s_mov_b32 s0, 0x32a5705f
	v_fma_f32 v7, |v3|, s0, v7
	v_add_f32_e32 v7, v10, v7
	v_exp_f32_e32 v7, v7
	v_cvt_i32_f32_e32 v9, v9
	s_mov_b32 s0, 0xc2ce8ed0
	v_add_f32_e32 v2, 0x3e81531c, v2
	v_cmp_nlt_f32_e64 s[0:1], |v3|, s0
	v_ldexp_f32 v7, v7, v9
	v_sub_f32_e32 v2, v2, v8
	v_cndmask_b32_e64 v7, 0, v7, s[0:1]
	s_mov_b32 s0, 0x42b17218
	v_mul_f32_e32 v2, 0.5, v2
	v_mov_b32_e32 v8, 0x7f800000
	v_cmp_ngt_f32_e64 s[0:1], |v3|, s0
	v_cmp_ngt_f32_e32 vcc, 0, v3
	v_mul_f32_e64 v2, |v3|, v2
	v_cndmask_b32_e64 v3, v8, v7, s[0:1]
	s_and_saveexec_b64 s[0:1], vcc
	s_xor_b64 s[0:1], exec, s[0:1]
; %bb.41:
	v_mul_f32_e32 v7, v3, v2
                                        ; implicit-def: $vgpr3
                                        ; implicit-def: $vgpr2
; %bb.42:
	s_andn2_saveexec_b64 s[0:1], s[0:1]
; %bb.43:
	v_mul_f32_e64 v7, v2, -v3
; %bb.44:
	s_or_b64 exec, exec, s[0:1]
                                        ; implicit-def: $vgpr2_vgpr3
.LBB15_45:
	s_andn2_saveexec_b64 s[10:11], s[10:11]
	s_cbranch_execz .LBB15_51
; %bb.46:
	v_and_b32_e32 v2, 0x7fffffff, v3
	s_mov_b32 s12, 0x42000000
	v_div_scale_f32 v7, s[0:1], v2, v2, s12
	v_rcp_f32_e32 v8, v7
	v_div_scale_f32 v2, vcc, s12, v2, s12
	s_mov_b32 s0, 0x3fb8aa3b
	v_fma_f32 v9, -v7, v8, 1.0
	v_fmac_f32_e32 v8, v9, v8
	v_mul_f32_e32 v9, v2, v8
	v_fma_f32 v10, -v7, v9, v2
	v_fmac_f32_e32 v9, v10, v8
	v_fma_f32 v2, -v7, v9, v2
	v_div_fmas_f32 v2, v2, v8, v9
	v_div_fixup_f32 v2, v2, |v3|, s12
	v_add_f32_e32 v2, -2.0, v2
	v_mov_b32_e32 v7, 0x22a2dc57
	v_fmac_f32_e32 v7, 0x230aab6e, v2
	v_fmaak_f32 v8, v2, v7, 0xa30aab6e
	v_add_f32_e32 v8, 0xa456751e, v8
	v_fma_f32 v7, v2, v8, -v7
	v_add_f32_e32 v7, 0xa4140365, v7
	v_fma_f32 v8, v2, v7, -v8
	v_add_f32_e32 v8, 0x25aac8b0, v8
	v_fma_f32 v7, v2, v8, -v7
	v_add_f32_e32 v7, 0x25beb473, v7
	v_fma_f32 v8, v2, v7, -v8
	v_add_f32_e32 v8, 0xa7077e6c, v8
	v_fma_f32 v7, v2, v8, -v7
	v_add_f32_e32 v7, 0xa7896da9, v7
	v_fma_f32 v8, v2, v7, -v8
	v_add_f32_e32 v8, 0x283bb70c, v8
	v_fma_f32 v7, v2, v8, -v7
	v_add_f32_e32 v7, 0x294069e1, v7
	v_fma_f32 v8, v2, v7, -v8
	v_add_f32_e32 v8, 0xa8bd4a41, v8
	v_fma_f32 v7, v2, v8, -v7
	v_add_f32_e32 v7, 0xaae5e22c, v7
	v_fma_f32 v8, v2, v7, -v8
	v_add_f32_e32 v8, 0xab4a9f08, v8
	v_fma_f32 v7, v2, v8, -v7
	v_add_f32_e32 v7, 0x2c0f3ea0, v7
	v_fma_f32 v8, v2, v7, -v8
	v_add_f32_e32 v8, 0x2d7880fb, v8
	v_fma_f32 v7, v2, v8, -v7
	v_add_f32_e32 v7, 0x2e0f0d10, v7
	v_fma_f32 v8, v2, v7, -v8
	v_add_f32_e32 v8, 0xada6e7cf, v8
	v_fma_f32 v7, v2, v8, -v7
	v_add_f32_e32 v7, 0xb019a653, v7
	v_fma_f32 v8, v2, v7, -v8
	v_add_f32_e32 v8, 0xb183c85d, v8
	v_fma_f32 v7, v2, v8, -v7
	v_add_f32_e32 v7, 0xb2e20a9d, v7
	v_fma_f32 v8, v2, v7, -v8
	v_mul_f32_e64 v9, |v3|, s0
	v_add_f32_e32 v8, 0xb486dfe9, v8
	v_rndne_f32_e32 v10, v9
	v_fma_f32 v7, v2, v8, -v7
	v_sub_f32_e32 v11, v9, v10
	v_fma_f32 v9, |v3|, s0, -v9
	s_mov_b32 s0, 0x32a5705f
	v_add_f32_e32 v7, 0xb68246fa, v7
	v_fma_f32 v9, |v3|, s0, v9
	v_fma_f32 v8, v2, v7, -v8
	v_add_f32_e32 v9, v11, v9
	v_add_f32_e32 v8, 0xb8e7ebfc, v8
	v_exp_f32_e32 v9, v9
	v_cvt_i32_f32_e32 v10, v10
	v_fma_f32 v7, v2, v8, -v7
	v_add_f32_e32 v7, 0xbc1fed03, v7
	v_fma_f32 v2, v2, v7, -v8
	s_mov_b32 s0, 0xc2ce8ed0
	v_add_f32_e32 v7, 0x3f4750c6, v2
	v_ldexp_f32 v2, v9, v10
	v_cmp_nlt_f32_e64 s[0:1], |v3|, s0
	v_mov_b32_e32 v9, 0x7f800000
	v_cmp_ngt_f32_e32 vcc, 0, v3
	v_cndmask_b32_e64 v2, 0, v2, s[0:1]
	s_mov_b32 s0, 0x42b17218
	v_cmp_ngt_f32_e64 s[0:1], |v3|, s0
	v_sub_f32_e32 v8, v7, v8
	s_nop 0
	v_cndmask_b32_e64 v2, v9, v2, s[0:1]
	s_and_saveexec_b64 s[0:1], vcc
	s_xor_b64 s[12:13], exec, s[0:1]
	s_cbranch_execz .LBB15_48
; %bb.47:
	s_mov_b32 s0, 0xf800000
	s_mov_b32 s1, 0x4f800000
	v_mul_f32_e64 v7, |v3|, s1
	v_cmp_lt_f32_e64 vcc, |v3|, s0
	v_mul_f32_e32 v8, 0.5, v8
	v_mul_f32_e32 v2, v2, v8
	v_cndmask_b32_e64 v3, |v3|, v7, vcc
	v_sqrt_f32_e32 v7, v3
	s_nop 0
	v_add_u32_e32 v8, -1, v7
	v_fma_f32 v9, -v8, v7, v3
	v_cmp_ge_f32_e64 s[0:1], 0, v9
	v_add_u32_e32 v9, 1, v7
	s_nop 0
	v_cndmask_b32_e64 v8, v7, v8, s[0:1]
	v_fma_f32 v7, -v9, v7, v3
	v_cmp_lt_f32_e64 s[0:1], 0, v7
	s_nop 1
	v_cndmask_b32_e64 v7, v8, v9, s[0:1]
	v_mul_f32_e32 v8, 0x37800000, v7
	v_cndmask_b32_e32 v7, v7, v8, vcc
	v_mov_b32_e32 v8, 0x260
	v_cmp_class_f32_e32 vcc, v3, v8
	s_nop 1
	v_cndmask_b32_e32 v3, v7, v3, vcc
	v_div_scale_f32 v7, s[0:1], v3, v3, v2
	v_rcp_f32_e32 v8, v7
	s_nop 0
	v_fma_f32 v9, -v7, v8, 1.0
	v_fmac_f32_e32 v8, v9, v8
	v_div_scale_f32 v9, vcc, v2, v3, v2
	v_mul_f32_e32 v10, v9, v8
	v_fma_f32 v11, -v7, v10, v9
	v_fmac_f32_e32 v10, v11, v8
	v_fma_f32 v7, -v7, v10, v9
	v_div_fmas_f32 v7, v7, v8, v10
	v_div_fixup_f32 v7, v7, v3, v2
                                        ; implicit-def: $vgpr2_vgpr3
                                        ; implicit-def: $vgpr8
                                        ; implicit-def: $vgpr2
.LBB15_48:
	s_andn2_saveexec_b64 s[12:13], s[12:13]
	s_cbranch_execz .LBB15_50
; %bb.49:
	s_mov_b32 s0, 0xf800000
	s_mov_b32 s1, 0x4f800000
	v_mul_f32_e64 v7, |v3|, s1
	v_cmp_lt_f32_e64 vcc, |v3|, s0
	s_nop 1
	v_cndmask_b32_e64 v3, |v3|, v7, vcc
	v_sqrt_f32_e32 v7, v3
	s_nop 0
	v_add_u32_e32 v9, -1, v7
	v_fma_f32 v10, -v9, v7, v3
	v_cmp_ge_f32_e64 s[0:1], 0, v10
	v_add_u32_e32 v10, 1, v7
	s_nop 0
	v_cndmask_b32_e64 v9, v7, v9, s[0:1]
	v_fma_f32 v7, -v10, v7, v3
	v_cmp_lt_f32_e64 s[0:1], 0, v7
	s_nop 1
	v_cndmask_b32_e64 v7, v9, v10, s[0:1]
	v_mul_f32_e32 v9, 0x37800000, v7
	v_cndmask_b32_e32 v7, v7, v9, vcc
	v_mov_b32_e32 v9, 0x260
	v_cmp_class_f32_e32 vcc, v3, v9
	s_nop 1
	v_cndmask_b32_e32 v3, v7, v3, vcc
	v_mul_f32_e32 v7, -0.5, v8
	v_mul_f32_e32 v2, v2, v7
	v_div_scale_f32 v7, s[0:1], v3, v3, v2
	v_rcp_f32_e32 v8, v7
	s_nop 0
	v_fma_f32 v9, -v7, v8, 1.0
	v_fmac_f32_e32 v8, v9, v8
	v_div_scale_f32 v9, vcc, v2, v3, v2
	v_mul_f32_e32 v10, v9, v8
	v_fma_f32 v11, -v7, v10, v9
	v_fmac_f32_e32 v10, v11, v8
	v_fma_f32 v7, -v7, v10, v9
	v_div_fmas_f32 v7, v7, v8, v10
	v_div_fixup_f32 v7, v7, v3, v2
.LBB15_50:
	s_or_b64 exec, exec, s[12:13]
.LBB15_51:
	s_or_b64 exec, exec, s[10:11]
	s_add_u32 s0, s4, s8
	s_addc_u32 s1, s5, s9
	global_store_dwordx2 v1, v[4:5], s[0:1]
	global_store_dwordx2 v1, v[6:7], s[0:1] offset:2048
	s_branch .LBB15_2
.LBB15_52:
	s_getpc_b64 s[0:1]
	s_add_u32 s0, s0, _ZN2at6native25elementwise_kernel_helperILb0EZZZNS0_12_GLOBAL__N_130modified_bessel_i1_kernel_cudaERNS_18TensorIteratorBaseEENKUlvE_clEvENKUlvE0_clEvEUlfE_NS0_6memory8policies11unroll_baseILi256ESt5arrayIPcLm2EE23TrivialOffsetCalculatorILi1EjESF_NS8_15LoadWithoutCastENS8_16StoreWithoutCastELi4ELi1EEEEEvT0_T1_@rel32@lo+4
	s_addc_u32 s1, s1, _ZN2at6native25elementwise_kernel_helperILb0EZZZNS0_12_GLOBAL__N_130modified_bessel_i1_kernel_cudaERNS_18TensorIteratorBaseEENKUlvE_clEvENKUlvE0_clEvEUlfE_NS0_6memory8policies11unroll_baseILi256ESt5arrayIPcLm2EE23TrivialOffsetCalculatorILi1EjESF_NS8_15LoadWithoutCastENS8_16StoreWithoutCastELi4ELi1EEEEEvT0_T1_@rel32@hi+12
	s_mov_b32 s12, s2
	v_mov_b32_e32 v31, v0
	v_mov_b32_e32 v0, s4
	;; [unrolled: 1-line block ×6, first 2 shown]
	s_swappc_b64 s[30:31], s[0:1]
	s_endpgm
	.section	.rodata,"a",@progbits
	.p2align	6, 0x0
	.amdhsa_kernel _ZN2at6native29vectorized_elementwise_kernelILi2EZZZNS0_12_GLOBAL__N_130modified_bessel_i1_kernel_cudaERNS_18TensorIteratorBaseEENKUlvE_clEvENKUlvE0_clEvEUlfE_St5arrayIPcLm2EEEEviT0_T1_
		.amdhsa_group_segment_fixed_size 0
		.amdhsa_private_segment_fixed_size 0
		.amdhsa_kernarg_size 24
		.amdhsa_user_sgpr_count 2
		.amdhsa_user_sgpr_dispatch_ptr 0
		.amdhsa_user_sgpr_queue_ptr 0
		.amdhsa_user_sgpr_kernarg_segment_ptr 1
		.amdhsa_user_sgpr_dispatch_id 0
		.amdhsa_user_sgpr_kernarg_preload_length 0
		.amdhsa_user_sgpr_kernarg_preload_offset 0
		.amdhsa_user_sgpr_private_segment_size 0
		.amdhsa_uses_dynamic_stack 0
		.amdhsa_enable_private_segment 0
		.amdhsa_system_sgpr_workgroup_id_x 1
		.amdhsa_system_sgpr_workgroup_id_y 0
		.amdhsa_system_sgpr_workgroup_id_z 0
		.amdhsa_system_sgpr_workgroup_info 0
		.amdhsa_system_vgpr_workitem_id 0
		.amdhsa_next_free_vgpr 32
		.amdhsa_next_free_sgpr 33
		.amdhsa_accum_offset 32
		.amdhsa_reserve_vcc 1
		.amdhsa_float_round_mode_32 0
		.amdhsa_float_round_mode_16_64 0
		.amdhsa_float_denorm_mode_32 3
		.amdhsa_float_denorm_mode_16_64 3
		.amdhsa_dx10_clamp 1
		.amdhsa_ieee_mode 1
		.amdhsa_fp16_overflow 0
		.amdhsa_tg_split 0
		.amdhsa_exception_fp_ieee_invalid_op 0
		.amdhsa_exception_fp_denorm_src 0
		.amdhsa_exception_fp_ieee_div_zero 0
		.amdhsa_exception_fp_ieee_overflow 0
		.amdhsa_exception_fp_ieee_underflow 0
		.amdhsa_exception_fp_ieee_inexact 0
		.amdhsa_exception_int_div_zero 0
	.end_amdhsa_kernel
	.section	.text._ZN2at6native29vectorized_elementwise_kernelILi2EZZZNS0_12_GLOBAL__N_130modified_bessel_i1_kernel_cudaERNS_18TensorIteratorBaseEENKUlvE_clEvENKUlvE0_clEvEUlfE_St5arrayIPcLm2EEEEviT0_T1_,"axG",@progbits,_ZN2at6native29vectorized_elementwise_kernelILi2EZZZNS0_12_GLOBAL__N_130modified_bessel_i1_kernel_cudaERNS_18TensorIteratorBaseEENKUlvE_clEvENKUlvE0_clEvEUlfE_St5arrayIPcLm2EEEEviT0_T1_,comdat
.Lfunc_end15:
	.size	_ZN2at6native29vectorized_elementwise_kernelILi2EZZZNS0_12_GLOBAL__N_130modified_bessel_i1_kernel_cudaERNS_18TensorIteratorBaseEENKUlvE_clEvENKUlvE0_clEvEUlfE_St5arrayIPcLm2EEEEviT0_T1_, .Lfunc_end15-_ZN2at6native29vectorized_elementwise_kernelILi2EZZZNS0_12_GLOBAL__N_130modified_bessel_i1_kernel_cudaERNS_18TensorIteratorBaseEENKUlvE_clEvENKUlvE0_clEvEUlfE_St5arrayIPcLm2EEEEviT0_T1_
                                        ; -- End function
	.set _ZN2at6native29vectorized_elementwise_kernelILi2EZZZNS0_12_GLOBAL__N_130modified_bessel_i1_kernel_cudaERNS_18TensorIteratorBaseEENKUlvE_clEvENKUlvE0_clEvEUlfE_St5arrayIPcLm2EEEEviT0_T1_.num_vgpr, max(32, .L_ZN2at6native25elementwise_kernel_helperILb0EZZZNS0_12_GLOBAL__N_130modified_bessel_i1_kernel_cudaERNS_18TensorIteratorBaseEENKUlvE_clEvENKUlvE0_clEvEUlfE_NS0_6memory8policies11unroll_baseILi256ESt5arrayIPcLm2EE23TrivialOffsetCalculatorILi1EjESF_NS8_15LoadWithoutCastENS8_16StoreWithoutCastELi4ELi1EEEEEvT0_T1_.num_vgpr)
	.set _ZN2at6native29vectorized_elementwise_kernelILi2EZZZNS0_12_GLOBAL__N_130modified_bessel_i1_kernel_cudaERNS_18TensorIteratorBaseEENKUlvE_clEvENKUlvE0_clEvEUlfE_St5arrayIPcLm2EEEEviT0_T1_.num_agpr, max(0, .L_ZN2at6native25elementwise_kernel_helperILb0EZZZNS0_12_GLOBAL__N_130modified_bessel_i1_kernel_cudaERNS_18TensorIteratorBaseEENKUlvE_clEvENKUlvE0_clEvEUlfE_NS0_6memory8policies11unroll_baseILi256ESt5arrayIPcLm2EE23TrivialOffsetCalculatorILi1EjESF_NS8_15LoadWithoutCastENS8_16StoreWithoutCastELi4ELi1EEEEEvT0_T1_.num_agpr)
	.set _ZN2at6native29vectorized_elementwise_kernelILi2EZZZNS0_12_GLOBAL__N_130modified_bessel_i1_kernel_cudaERNS_18TensorIteratorBaseEENKUlvE_clEvENKUlvE0_clEvEUlfE_St5arrayIPcLm2EEEEviT0_T1_.numbered_sgpr, max(33, .L_ZN2at6native25elementwise_kernel_helperILb0EZZZNS0_12_GLOBAL__N_130modified_bessel_i1_kernel_cudaERNS_18TensorIteratorBaseEENKUlvE_clEvENKUlvE0_clEvEUlfE_NS0_6memory8policies11unroll_baseILi256ESt5arrayIPcLm2EE23TrivialOffsetCalculatorILi1EjESF_NS8_15LoadWithoutCastENS8_16StoreWithoutCastELi4ELi1EEEEEvT0_T1_.numbered_sgpr)
	.set _ZN2at6native29vectorized_elementwise_kernelILi2EZZZNS0_12_GLOBAL__N_130modified_bessel_i1_kernel_cudaERNS_18TensorIteratorBaseEENKUlvE_clEvENKUlvE0_clEvEUlfE_St5arrayIPcLm2EEEEviT0_T1_.num_named_barrier, max(0, .L_ZN2at6native25elementwise_kernel_helperILb0EZZZNS0_12_GLOBAL__N_130modified_bessel_i1_kernel_cudaERNS_18TensorIteratorBaseEENKUlvE_clEvENKUlvE0_clEvEUlfE_NS0_6memory8policies11unroll_baseILi256ESt5arrayIPcLm2EE23TrivialOffsetCalculatorILi1EjESF_NS8_15LoadWithoutCastENS8_16StoreWithoutCastELi4ELi1EEEEEvT0_T1_.num_named_barrier)
	.set _ZN2at6native29vectorized_elementwise_kernelILi2EZZZNS0_12_GLOBAL__N_130modified_bessel_i1_kernel_cudaERNS_18TensorIteratorBaseEENKUlvE_clEvENKUlvE0_clEvEUlfE_St5arrayIPcLm2EEEEviT0_T1_.private_seg_size, 0+max(.L_ZN2at6native25elementwise_kernel_helperILb0EZZZNS0_12_GLOBAL__N_130modified_bessel_i1_kernel_cudaERNS_18TensorIteratorBaseEENKUlvE_clEvENKUlvE0_clEvEUlfE_NS0_6memory8policies11unroll_baseILi256ESt5arrayIPcLm2EE23TrivialOffsetCalculatorILi1EjESF_NS8_15LoadWithoutCastENS8_16StoreWithoutCastELi4ELi1EEEEEvT0_T1_.private_seg_size)
	.set _ZN2at6native29vectorized_elementwise_kernelILi2EZZZNS0_12_GLOBAL__N_130modified_bessel_i1_kernel_cudaERNS_18TensorIteratorBaseEENKUlvE_clEvENKUlvE0_clEvEUlfE_St5arrayIPcLm2EEEEviT0_T1_.uses_vcc, or(1, .L_ZN2at6native25elementwise_kernel_helperILb0EZZZNS0_12_GLOBAL__N_130modified_bessel_i1_kernel_cudaERNS_18TensorIteratorBaseEENKUlvE_clEvENKUlvE0_clEvEUlfE_NS0_6memory8policies11unroll_baseILi256ESt5arrayIPcLm2EE23TrivialOffsetCalculatorILi1EjESF_NS8_15LoadWithoutCastENS8_16StoreWithoutCastELi4ELi1EEEEEvT0_T1_.uses_vcc)
	.set _ZN2at6native29vectorized_elementwise_kernelILi2EZZZNS0_12_GLOBAL__N_130modified_bessel_i1_kernel_cudaERNS_18TensorIteratorBaseEENKUlvE_clEvENKUlvE0_clEvEUlfE_St5arrayIPcLm2EEEEviT0_T1_.uses_flat_scratch, or(0, .L_ZN2at6native25elementwise_kernel_helperILb0EZZZNS0_12_GLOBAL__N_130modified_bessel_i1_kernel_cudaERNS_18TensorIteratorBaseEENKUlvE_clEvENKUlvE0_clEvEUlfE_NS0_6memory8policies11unroll_baseILi256ESt5arrayIPcLm2EE23TrivialOffsetCalculatorILi1EjESF_NS8_15LoadWithoutCastENS8_16StoreWithoutCastELi4ELi1EEEEEvT0_T1_.uses_flat_scratch)
	.set _ZN2at6native29vectorized_elementwise_kernelILi2EZZZNS0_12_GLOBAL__N_130modified_bessel_i1_kernel_cudaERNS_18TensorIteratorBaseEENKUlvE_clEvENKUlvE0_clEvEUlfE_St5arrayIPcLm2EEEEviT0_T1_.has_dyn_sized_stack, or(0, .L_ZN2at6native25elementwise_kernel_helperILb0EZZZNS0_12_GLOBAL__N_130modified_bessel_i1_kernel_cudaERNS_18TensorIteratorBaseEENKUlvE_clEvENKUlvE0_clEvEUlfE_NS0_6memory8policies11unroll_baseILi256ESt5arrayIPcLm2EE23TrivialOffsetCalculatorILi1EjESF_NS8_15LoadWithoutCastENS8_16StoreWithoutCastELi4ELi1EEEEEvT0_T1_.has_dyn_sized_stack)
	.set _ZN2at6native29vectorized_elementwise_kernelILi2EZZZNS0_12_GLOBAL__N_130modified_bessel_i1_kernel_cudaERNS_18TensorIteratorBaseEENKUlvE_clEvENKUlvE0_clEvEUlfE_St5arrayIPcLm2EEEEviT0_T1_.has_recursion, or(0, .L_ZN2at6native25elementwise_kernel_helperILb0EZZZNS0_12_GLOBAL__N_130modified_bessel_i1_kernel_cudaERNS_18TensorIteratorBaseEENKUlvE_clEvENKUlvE0_clEvEUlfE_NS0_6memory8policies11unroll_baseILi256ESt5arrayIPcLm2EE23TrivialOffsetCalculatorILi1EjESF_NS8_15LoadWithoutCastENS8_16StoreWithoutCastELi4ELi1EEEEEvT0_T1_.has_recursion)
	.set _ZN2at6native29vectorized_elementwise_kernelILi2EZZZNS0_12_GLOBAL__N_130modified_bessel_i1_kernel_cudaERNS_18TensorIteratorBaseEENKUlvE_clEvENKUlvE0_clEvEUlfE_St5arrayIPcLm2EEEEviT0_T1_.has_indirect_call, or(0, .L_ZN2at6native25elementwise_kernel_helperILb0EZZZNS0_12_GLOBAL__N_130modified_bessel_i1_kernel_cudaERNS_18TensorIteratorBaseEENKUlvE_clEvENKUlvE0_clEvEUlfE_NS0_6memory8policies11unroll_baseILi256ESt5arrayIPcLm2EE23TrivialOffsetCalculatorILi1EjESF_NS8_15LoadWithoutCastENS8_16StoreWithoutCastELi4ELi1EEEEEvT0_T1_.has_indirect_call)
	.section	.AMDGPU.csdata,"",@progbits
; Kernel info:
; codeLenInByte = 7240
; TotalNumSgprs: 39
; NumVgprs: 32
; NumAgprs: 0
; TotalNumVgprs: 32
; ScratchSize: 0
; MemoryBound: 0
; FloatMode: 240
; IeeeMode: 1
; LDSByteSize: 0 bytes/workgroup (compile time only)
; SGPRBlocks: 4
; VGPRBlocks: 3
; NumSGPRsForWavesPerEU: 39
; NumVGPRsForWavesPerEU: 32
; AccumOffset: 32
; Occupancy: 8
; WaveLimiterHint : 1
; COMPUTE_PGM_RSRC2:SCRATCH_EN: 0
; COMPUTE_PGM_RSRC2:USER_SGPR: 2
; COMPUTE_PGM_RSRC2:TRAP_HANDLER: 0
; COMPUTE_PGM_RSRC2:TGID_X_EN: 1
; COMPUTE_PGM_RSRC2:TGID_Y_EN: 0
; COMPUTE_PGM_RSRC2:TGID_Z_EN: 0
; COMPUTE_PGM_RSRC2:TIDIG_COMP_CNT: 0
; COMPUTE_PGM_RSRC3_GFX90A:ACCUM_OFFSET: 7
; COMPUTE_PGM_RSRC3_GFX90A:TG_SPLIT: 0
	.section	.text._ZN2at6native27unrolled_elementwise_kernelIZZZNS0_12_GLOBAL__N_130modified_bessel_i1_kernel_cudaERNS_18TensorIteratorBaseEENKUlvE_clEvENKUlvE0_clEvEUlfE_St5arrayIPcLm2EELi4E23TrivialOffsetCalculatorILi1EjESC_NS0_6memory15LoadWithoutCastENSD_16StoreWithoutCastEEEviT_T0_T2_T3_T4_T5_,"axG",@progbits,_ZN2at6native27unrolled_elementwise_kernelIZZZNS0_12_GLOBAL__N_130modified_bessel_i1_kernel_cudaERNS_18TensorIteratorBaseEENKUlvE_clEvENKUlvE0_clEvEUlfE_St5arrayIPcLm2EELi4E23TrivialOffsetCalculatorILi1EjESC_NS0_6memory15LoadWithoutCastENSD_16StoreWithoutCastEEEviT_T0_T2_T3_T4_T5_,comdat
	.globl	_ZN2at6native27unrolled_elementwise_kernelIZZZNS0_12_GLOBAL__N_130modified_bessel_i1_kernel_cudaERNS_18TensorIteratorBaseEENKUlvE_clEvENKUlvE0_clEvEUlfE_St5arrayIPcLm2EELi4E23TrivialOffsetCalculatorILi1EjESC_NS0_6memory15LoadWithoutCastENSD_16StoreWithoutCastEEEviT_T0_T2_T3_T4_T5_ ; -- Begin function _ZN2at6native27unrolled_elementwise_kernelIZZZNS0_12_GLOBAL__N_130modified_bessel_i1_kernel_cudaERNS_18TensorIteratorBaseEENKUlvE_clEvENKUlvE0_clEvEUlfE_St5arrayIPcLm2EELi4E23TrivialOffsetCalculatorILi1EjESC_NS0_6memory15LoadWithoutCastENSD_16StoreWithoutCastEEEviT_T0_T2_T3_T4_T5_
	.p2align	8
	.type	_ZN2at6native27unrolled_elementwise_kernelIZZZNS0_12_GLOBAL__N_130modified_bessel_i1_kernel_cudaERNS_18TensorIteratorBaseEENKUlvE_clEvENKUlvE0_clEvEUlfE_St5arrayIPcLm2EELi4E23TrivialOffsetCalculatorILi1EjESC_NS0_6memory15LoadWithoutCastENSD_16StoreWithoutCastEEEviT_T0_T2_T3_T4_T5_,@function
_ZN2at6native27unrolled_elementwise_kernelIZZZNS0_12_GLOBAL__N_130modified_bessel_i1_kernel_cudaERNS_18TensorIteratorBaseEENKUlvE_clEvENKUlvE0_clEvEUlfE_St5arrayIPcLm2EELi4E23TrivialOffsetCalculatorILi1EjESC_NS0_6memory15LoadWithoutCastENSD_16StoreWithoutCastEEEviT_T0_T2_T3_T4_T5_: ; @_ZN2at6native27unrolled_elementwise_kernelIZZZNS0_12_GLOBAL__N_130modified_bessel_i1_kernel_cudaERNS_18TensorIteratorBaseEENKUlvE_clEvENKUlvE0_clEvEUlfE_St5arrayIPcLm2EELi4E23TrivialOffsetCalculatorILi1EjESC_NS0_6memory15LoadWithoutCastENSD_16StoreWithoutCastEEEviT_T0_T2_T3_T4_T5_
; %bb.0:
	s_load_dword s3, s[0:1], 0x0
	s_load_dwordx4 s[4:7], s[0:1], 0x8
	s_lshl_b32 s0, s2, 10
	s_mov_b32 s12, s2
	v_mov_b32_e32 v31, v0
	s_waitcnt lgkmcnt(0)
	s_sub_i32 s3, s3, s0
	s_getpc_b64 s[0:1]
	s_add_u32 s0, s0, _ZN2at6native25elementwise_kernel_helperILb0EZZZNS0_12_GLOBAL__N_130modified_bessel_i1_kernel_cudaERNS_18TensorIteratorBaseEENKUlvE_clEvENKUlvE0_clEvEUlfE_NS0_6memory8policies11unroll_baseILi256ESt5arrayIPcLm2EE23TrivialOffsetCalculatorILi1EjESF_NS8_15LoadWithoutCastENS8_16StoreWithoutCastELi4ELi1EEEEEvT0_T1_@rel32@lo+4
	s_addc_u32 s1, s1, _ZN2at6native25elementwise_kernel_helperILb0EZZZNS0_12_GLOBAL__N_130modified_bessel_i1_kernel_cudaERNS_18TensorIteratorBaseEENKUlvE_clEvENKUlvE0_clEvEUlfE_NS0_6memory8policies11unroll_baseILi256ESt5arrayIPcLm2EE23TrivialOffsetCalculatorILi1EjESF_NS8_15LoadWithoutCastENS8_16StoreWithoutCastELi4ELi1EEEEEvT0_T1_@rel32@hi+12
	v_mov_b32_e32 v0, s4
	v_mov_b32_e32 v1, s5
	;; [unrolled: 1-line block ×5, first 2 shown]
	s_mov_b32 s32, 0
	s_swappc_b64 s[30:31], s[0:1]
	s_endpgm
	.section	.rodata,"a",@progbits
	.p2align	6, 0x0
	.amdhsa_kernel _ZN2at6native27unrolled_elementwise_kernelIZZZNS0_12_GLOBAL__N_130modified_bessel_i1_kernel_cudaERNS_18TensorIteratorBaseEENKUlvE_clEvENKUlvE0_clEvEUlfE_St5arrayIPcLm2EELi4E23TrivialOffsetCalculatorILi1EjESC_NS0_6memory15LoadWithoutCastENSD_16StoreWithoutCastEEEviT_T0_T2_T3_T4_T5_
		.amdhsa_group_segment_fixed_size 0
		.amdhsa_private_segment_fixed_size 0
		.amdhsa_kernarg_size 28
		.amdhsa_user_sgpr_count 2
		.amdhsa_user_sgpr_dispatch_ptr 0
		.amdhsa_user_sgpr_queue_ptr 0
		.amdhsa_user_sgpr_kernarg_segment_ptr 1
		.amdhsa_user_sgpr_dispatch_id 0
		.amdhsa_user_sgpr_kernarg_preload_length 0
		.amdhsa_user_sgpr_kernarg_preload_offset 0
		.amdhsa_user_sgpr_private_segment_size 0
		.amdhsa_uses_dynamic_stack 0
		.amdhsa_enable_private_segment 0
		.amdhsa_system_sgpr_workgroup_id_x 1
		.amdhsa_system_sgpr_workgroup_id_y 0
		.amdhsa_system_sgpr_workgroup_id_z 0
		.amdhsa_system_sgpr_workgroup_info 0
		.amdhsa_system_vgpr_workitem_id 0
		.amdhsa_next_free_vgpr 32
		.amdhsa_next_free_sgpr 33
		.amdhsa_accum_offset 32
		.amdhsa_reserve_vcc 1
		.amdhsa_float_round_mode_32 0
		.amdhsa_float_round_mode_16_64 0
		.amdhsa_float_denorm_mode_32 3
		.amdhsa_float_denorm_mode_16_64 3
		.amdhsa_dx10_clamp 1
		.amdhsa_ieee_mode 1
		.amdhsa_fp16_overflow 0
		.amdhsa_tg_split 0
		.amdhsa_exception_fp_ieee_invalid_op 0
		.amdhsa_exception_fp_denorm_src 0
		.amdhsa_exception_fp_ieee_div_zero 0
		.amdhsa_exception_fp_ieee_overflow 0
		.amdhsa_exception_fp_ieee_underflow 0
		.amdhsa_exception_fp_ieee_inexact 0
		.amdhsa_exception_int_div_zero 0
	.end_amdhsa_kernel
	.section	.text._ZN2at6native27unrolled_elementwise_kernelIZZZNS0_12_GLOBAL__N_130modified_bessel_i1_kernel_cudaERNS_18TensorIteratorBaseEENKUlvE_clEvENKUlvE0_clEvEUlfE_St5arrayIPcLm2EELi4E23TrivialOffsetCalculatorILi1EjESC_NS0_6memory15LoadWithoutCastENSD_16StoreWithoutCastEEEviT_T0_T2_T3_T4_T5_,"axG",@progbits,_ZN2at6native27unrolled_elementwise_kernelIZZZNS0_12_GLOBAL__N_130modified_bessel_i1_kernel_cudaERNS_18TensorIteratorBaseEENKUlvE_clEvENKUlvE0_clEvEUlfE_St5arrayIPcLm2EELi4E23TrivialOffsetCalculatorILi1EjESC_NS0_6memory15LoadWithoutCastENSD_16StoreWithoutCastEEEviT_T0_T2_T3_T4_T5_,comdat
.Lfunc_end16:
	.size	_ZN2at6native27unrolled_elementwise_kernelIZZZNS0_12_GLOBAL__N_130modified_bessel_i1_kernel_cudaERNS_18TensorIteratorBaseEENKUlvE_clEvENKUlvE0_clEvEUlfE_St5arrayIPcLm2EELi4E23TrivialOffsetCalculatorILi1EjESC_NS0_6memory15LoadWithoutCastENSD_16StoreWithoutCastEEEviT_T0_T2_T3_T4_T5_, .Lfunc_end16-_ZN2at6native27unrolled_elementwise_kernelIZZZNS0_12_GLOBAL__N_130modified_bessel_i1_kernel_cudaERNS_18TensorIteratorBaseEENKUlvE_clEvENKUlvE0_clEvEUlfE_St5arrayIPcLm2EELi4E23TrivialOffsetCalculatorILi1EjESC_NS0_6memory15LoadWithoutCastENSD_16StoreWithoutCastEEEviT_T0_T2_T3_T4_T5_
                                        ; -- End function
	.set _ZN2at6native27unrolled_elementwise_kernelIZZZNS0_12_GLOBAL__N_130modified_bessel_i1_kernel_cudaERNS_18TensorIteratorBaseEENKUlvE_clEvENKUlvE0_clEvEUlfE_St5arrayIPcLm2EELi4E23TrivialOffsetCalculatorILi1EjESC_NS0_6memory15LoadWithoutCastENSD_16StoreWithoutCastEEEviT_T0_T2_T3_T4_T5_.num_vgpr, max(32, .L_ZN2at6native25elementwise_kernel_helperILb0EZZZNS0_12_GLOBAL__N_130modified_bessel_i1_kernel_cudaERNS_18TensorIteratorBaseEENKUlvE_clEvENKUlvE0_clEvEUlfE_NS0_6memory8policies11unroll_baseILi256ESt5arrayIPcLm2EE23TrivialOffsetCalculatorILi1EjESF_NS8_15LoadWithoutCastENS8_16StoreWithoutCastELi4ELi1EEEEEvT0_T1_.num_vgpr)
	.set _ZN2at6native27unrolled_elementwise_kernelIZZZNS0_12_GLOBAL__N_130modified_bessel_i1_kernel_cudaERNS_18TensorIteratorBaseEENKUlvE_clEvENKUlvE0_clEvEUlfE_St5arrayIPcLm2EELi4E23TrivialOffsetCalculatorILi1EjESC_NS0_6memory15LoadWithoutCastENSD_16StoreWithoutCastEEEviT_T0_T2_T3_T4_T5_.num_agpr, max(0, .L_ZN2at6native25elementwise_kernel_helperILb0EZZZNS0_12_GLOBAL__N_130modified_bessel_i1_kernel_cudaERNS_18TensorIteratorBaseEENKUlvE_clEvENKUlvE0_clEvEUlfE_NS0_6memory8policies11unroll_baseILi256ESt5arrayIPcLm2EE23TrivialOffsetCalculatorILi1EjESF_NS8_15LoadWithoutCastENS8_16StoreWithoutCastELi4ELi1EEEEEvT0_T1_.num_agpr)
	.set _ZN2at6native27unrolled_elementwise_kernelIZZZNS0_12_GLOBAL__N_130modified_bessel_i1_kernel_cudaERNS_18TensorIteratorBaseEENKUlvE_clEvENKUlvE0_clEvEUlfE_St5arrayIPcLm2EELi4E23TrivialOffsetCalculatorILi1EjESC_NS0_6memory15LoadWithoutCastENSD_16StoreWithoutCastEEEviT_T0_T2_T3_T4_T5_.numbered_sgpr, max(33, .L_ZN2at6native25elementwise_kernel_helperILb0EZZZNS0_12_GLOBAL__N_130modified_bessel_i1_kernel_cudaERNS_18TensorIteratorBaseEENKUlvE_clEvENKUlvE0_clEvEUlfE_NS0_6memory8policies11unroll_baseILi256ESt5arrayIPcLm2EE23TrivialOffsetCalculatorILi1EjESF_NS8_15LoadWithoutCastENS8_16StoreWithoutCastELi4ELi1EEEEEvT0_T1_.numbered_sgpr)
	.set _ZN2at6native27unrolled_elementwise_kernelIZZZNS0_12_GLOBAL__N_130modified_bessel_i1_kernel_cudaERNS_18TensorIteratorBaseEENKUlvE_clEvENKUlvE0_clEvEUlfE_St5arrayIPcLm2EELi4E23TrivialOffsetCalculatorILi1EjESC_NS0_6memory15LoadWithoutCastENSD_16StoreWithoutCastEEEviT_T0_T2_T3_T4_T5_.num_named_barrier, max(0, .L_ZN2at6native25elementwise_kernel_helperILb0EZZZNS0_12_GLOBAL__N_130modified_bessel_i1_kernel_cudaERNS_18TensorIteratorBaseEENKUlvE_clEvENKUlvE0_clEvEUlfE_NS0_6memory8policies11unroll_baseILi256ESt5arrayIPcLm2EE23TrivialOffsetCalculatorILi1EjESF_NS8_15LoadWithoutCastENS8_16StoreWithoutCastELi4ELi1EEEEEvT0_T1_.num_named_barrier)
	.set _ZN2at6native27unrolled_elementwise_kernelIZZZNS0_12_GLOBAL__N_130modified_bessel_i1_kernel_cudaERNS_18TensorIteratorBaseEENKUlvE_clEvENKUlvE0_clEvEUlfE_St5arrayIPcLm2EELi4E23TrivialOffsetCalculatorILi1EjESC_NS0_6memory15LoadWithoutCastENSD_16StoreWithoutCastEEEviT_T0_T2_T3_T4_T5_.private_seg_size, 0+max(.L_ZN2at6native25elementwise_kernel_helperILb0EZZZNS0_12_GLOBAL__N_130modified_bessel_i1_kernel_cudaERNS_18TensorIteratorBaseEENKUlvE_clEvENKUlvE0_clEvEUlfE_NS0_6memory8policies11unroll_baseILi256ESt5arrayIPcLm2EE23TrivialOffsetCalculatorILi1EjESF_NS8_15LoadWithoutCastENS8_16StoreWithoutCastELi4ELi1EEEEEvT0_T1_.private_seg_size)
	.set _ZN2at6native27unrolled_elementwise_kernelIZZZNS0_12_GLOBAL__N_130modified_bessel_i1_kernel_cudaERNS_18TensorIteratorBaseEENKUlvE_clEvENKUlvE0_clEvEUlfE_St5arrayIPcLm2EELi4E23TrivialOffsetCalculatorILi1EjESC_NS0_6memory15LoadWithoutCastENSD_16StoreWithoutCastEEEviT_T0_T2_T3_T4_T5_.uses_vcc, or(1, .L_ZN2at6native25elementwise_kernel_helperILb0EZZZNS0_12_GLOBAL__N_130modified_bessel_i1_kernel_cudaERNS_18TensorIteratorBaseEENKUlvE_clEvENKUlvE0_clEvEUlfE_NS0_6memory8policies11unroll_baseILi256ESt5arrayIPcLm2EE23TrivialOffsetCalculatorILi1EjESF_NS8_15LoadWithoutCastENS8_16StoreWithoutCastELi4ELi1EEEEEvT0_T1_.uses_vcc)
	.set _ZN2at6native27unrolled_elementwise_kernelIZZZNS0_12_GLOBAL__N_130modified_bessel_i1_kernel_cudaERNS_18TensorIteratorBaseEENKUlvE_clEvENKUlvE0_clEvEUlfE_St5arrayIPcLm2EELi4E23TrivialOffsetCalculatorILi1EjESC_NS0_6memory15LoadWithoutCastENSD_16StoreWithoutCastEEEviT_T0_T2_T3_T4_T5_.uses_flat_scratch, or(0, .L_ZN2at6native25elementwise_kernel_helperILb0EZZZNS0_12_GLOBAL__N_130modified_bessel_i1_kernel_cudaERNS_18TensorIteratorBaseEENKUlvE_clEvENKUlvE0_clEvEUlfE_NS0_6memory8policies11unroll_baseILi256ESt5arrayIPcLm2EE23TrivialOffsetCalculatorILi1EjESF_NS8_15LoadWithoutCastENS8_16StoreWithoutCastELi4ELi1EEEEEvT0_T1_.uses_flat_scratch)
	.set _ZN2at6native27unrolled_elementwise_kernelIZZZNS0_12_GLOBAL__N_130modified_bessel_i1_kernel_cudaERNS_18TensorIteratorBaseEENKUlvE_clEvENKUlvE0_clEvEUlfE_St5arrayIPcLm2EELi4E23TrivialOffsetCalculatorILi1EjESC_NS0_6memory15LoadWithoutCastENSD_16StoreWithoutCastEEEviT_T0_T2_T3_T4_T5_.has_dyn_sized_stack, or(0, .L_ZN2at6native25elementwise_kernel_helperILb0EZZZNS0_12_GLOBAL__N_130modified_bessel_i1_kernel_cudaERNS_18TensorIteratorBaseEENKUlvE_clEvENKUlvE0_clEvEUlfE_NS0_6memory8policies11unroll_baseILi256ESt5arrayIPcLm2EE23TrivialOffsetCalculatorILi1EjESF_NS8_15LoadWithoutCastENS8_16StoreWithoutCastELi4ELi1EEEEEvT0_T1_.has_dyn_sized_stack)
	.set _ZN2at6native27unrolled_elementwise_kernelIZZZNS0_12_GLOBAL__N_130modified_bessel_i1_kernel_cudaERNS_18TensorIteratorBaseEENKUlvE_clEvENKUlvE0_clEvEUlfE_St5arrayIPcLm2EELi4E23TrivialOffsetCalculatorILi1EjESC_NS0_6memory15LoadWithoutCastENSD_16StoreWithoutCastEEEviT_T0_T2_T3_T4_T5_.has_recursion, or(0, .L_ZN2at6native25elementwise_kernel_helperILb0EZZZNS0_12_GLOBAL__N_130modified_bessel_i1_kernel_cudaERNS_18TensorIteratorBaseEENKUlvE_clEvENKUlvE0_clEvEUlfE_NS0_6memory8policies11unroll_baseILi256ESt5arrayIPcLm2EE23TrivialOffsetCalculatorILi1EjESF_NS8_15LoadWithoutCastENS8_16StoreWithoutCastELi4ELi1EEEEEvT0_T1_.has_recursion)
	.set _ZN2at6native27unrolled_elementwise_kernelIZZZNS0_12_GLOBAL__N_130modified_bessel_i1_kernel_cudaERNS_18TensorIteratorBaseEENKUlvE_clEvENKUlvE0_clEvEUlfE_St5arrayIPcLm2EELi4E23TrivialOffsetCalculatorILi1EjESC_NS0_6memory15LoadWithoutCastENSD_16StoreWithoutCastEEEviT_T0_T2_T3_T4_T5_.has_indirect_call, or(0, .L_ZN2at6native25elementwise_kernel_helperILb0EZZZNS0_12_GLOBAL__N_130modified_bessel_i1_kernel_cudaERNS_18TensorIteratorBaseEENKUlvE_clEvENKUlvE0_clEvEUlfE_NS0_6memory8policies11unroll_baseILi256ESt5arrayIPcLm2EE23TrivialOffsetCalculatorILi1EjESF_NS8_15LoadWithoutCastENS8_16StoreWithoutCastELi4ELi1EEEEEvT0_T1_.has_indirect_call)
	.section	.AMDGPU.csdata,"",@progbits
; Kernel info:
; codeLenInByte = 88
; TotalNumSgprs: 39
; NumVgprs: 32
; NumAgprs: 0
; TotalNumVgprs: 32
; ScratchSize: 0
; MemoryBound: 0
; FloatMode: 240
; IeeeMode: 1
; LDSByteSize: 0 bytes/workgroup (compile time only)
; SGPRBlocks: 4
; VGPRBlocks: 3
; NumSGPRsForWavesPerEU: 39
; NumVGPRsForWavesPerEU: 32
; AccumOffset: 32
; Occupancy: 8
; WaveLimiterHint : 0
; COMPUTE_PGM_RSRC2:SCRATCH_EN: 0
; COMPUTE_PGM_RSRC2:USER_SGPR: 2
; COMPUTE_PGM_RSRC2:TRAP_HANDLER: 0
; COMPUTE_PGM_RSRC2:TGID_X_EN: 1
; COMPUTE_PGM_RSRC2:TGID_Y_EN: 0
; COMPUTE_PGM_RSRC2:TGID_Z_EN: 0
; COMPUTE_PGM_RSRC2:TIDIG_COMP_CNT: 0
; COMPUTE_PGM_RSRC3_GFX90A:ACCUM_OFFSET: 7
; COMPUTE_PGM_RSRC3_GFX90A:TG_SPLIT: 0
	.section	.text._ZN2at6native32elementwise_kernel_manual_unrollILi128ELi4EZNS0_22gpu_kernel_impl_nocastIZZZNS0_12_GLOBAL__N_130modified_bessel_i1_kernel_cudaERNS_18TensorIteratorBaseEENKUlvE_clEvENKUlvE0_clEvEUlfE_EEvS5_RKT_EUlibE_EEviT1_,"axG",@progbits,_ZN2at6native32elementwise_kernel_manual_unrollILi128ELi4EZNS0_22gpu_kernel_impl_nocastIZZZNS0_12_GLOBAL__N_130modified_bessel_i1_kernel_cudaERNS_18TensorIteratorBaseEENKUlvE_clEvENKUlvE0_clEvEUlfE_EEvS5_RKT_EUlibE_EEviT1_,comdat
	.globl	_ZN2at6native32elementwise_kernel_manual_unrollILi128ELi4EZNS0_22gpu_kernel_impl_nocastIZZZNS0_12_GLOBAL__N_130modified_bessel_i1_kernel_cudaERNS_18TensorIteratorBaseEENKUlvE_clEvENKUlvE0_clEvEUlfE_EEvS5_RKT_EUlibE_EEviT1_ ; -- Begin function _ZN2at6native32elementwise_kernel_manual_unrollILi128ELi4EZNS0_22gpu_kernel_impl_nocastIZZZNS0_12_GLOBAL__N_130modified_bessel_i1_kernel_cudaERNS_18TensorIteratorBaseEENKUlvE_clEvENKUlvE0_clEvEUlfE_EEvS5_RKT_EUlibE_EEviT1_
	.p2align	8
	.type	_ZN2at6native32elementwise_kernel_manual_unrollILi128ELi4EZNS0_22gpu_kernel_impl_nocastIZZZNS0_12_GLOBAL__N_130modified_bessel_i1_kernel_cudaERNS_18TensorIteratorBaseEENKUlvE_clEvENKUlvE0_clEvEUlfE_EEvS5_RKT_EUlibE_EEviT1_,@function
_ZN2at6native32elementwise_kernel_manual_unrollILi128ELi4EZNS0_22gpu_kernel_impl_nocastIZZZNS0_12_GLOBAL__N_130modified_bessel_i1_kernel_cudaERNS_18TensorIteratorBaseEENKUlvE_clEvENKUlvE0_clEvEUlfE_EEvS5_RKT_EUlibE_EEviT1_: ; @_ZN2at6native32elementwise_kernel_manual_unrollILi128ELi4EZNS0_22gpu_kernel_impl_nocastIZZZNS0_12_GLOBAL__N_130modified_bessel_i1_kernel_cudaERNS_18TensorIteratorBaseEENKUlvE_clEvENKUlvE0_clEvEUlfE_EEvS5_RKT_EUlibE_EEviT1_
; %bb.0:
	s_load_dword s55, s[0:1], 0x0
	s_load_dword s33, s[0:1], 0x8
	s_add_u32 s34, s0, 8
	s_addc_u32 s35, s1, 0
	v_lshl_or_b32 v4, s2, 9, v0
	v_or_b32_e32 v16, 0x180, v4
	s_waitcnt lgkmcnt(0)
	s_add_i32 s54, s33, -1
	s_cmp_gt_u32 s54, 1
	v_cmp_le_i32_e32 vcc, s55, v16
	s_cselect_b64 s[36:37], -1, 0
	s_and_saveexec_b64 s[0:1], vcc
	s_xor_b64 s[38:39], exec, s[0:1]
	s_cbranch_execz .LBB17_8
; %bb.1:
	s_load_dwordx4 s[24:27], s[34:35], 0x4
	s_load_dwordx2 s[40:41], s[34:35], 0x14
	s_load_dwordx4 s[20:23], s[34:35], 0xc4
	s_load_dwordx4 s[16:19], s[34:35], 0x148
	s_cmp_lg_u32 s33, 0
	s_cselect_b64 s[46:47], -1, 0
	s_add_u32 s44, s34, 0xc4
	s_addc_u32 s45, s35, 0
	s_min_u32 s56, s54, 15
	s_cmp_gt_u32 s33, 1
	s_cselect_b64 s[42:43], -1, 0
	v_cmp_gt_i32_e32 vcc, s55, v4
	s_and_saveexec_b64 s[48:49], vcc
	s_cbranch_execz .LBB17_15
; %bb.2:
	s_andn2_b64 vcc, exec, s[36:37]
	s_cbranch_vccnz .LBB17_23
; %bb.3:
	s_andn2_b64 vcc, exec, s[46:47]
	s_cbranch_vccnz .LBB17_123
; %bb.4:
	s_add_i32 s58, s56, 1
	s_cmp_eq_u32 s54, 2
	s_cbranch_scc1 .LBB17_125
; %bb.5:
	s_and_b32 s57, s58, 28
	s_mov_b32 s59, 0
	v_mov_b32_e32 v0, 0
	v_mov_b32_e32 v2, 0
	s_mov_b64 s[50:51], s[34:35]
	s_mov_b64 s[52:53], s[44:45]
	v_mov_b32_e32 v5, v4
.LBB17_6:                               ; =>This Inner Loop Header: Depth=1
	s_load_dwordx8 s[8:15], s[50:51], 0x4
	s_load_dwordx4 s[28:31], s[50:51], 0x24
	s_load_dwordx8 s[0:7], s[52:53], 0x0
	s_add_u32 s50, s50, 48
	s_addc_u32 s51, s51, 0
	s_waitcnt lgkmcnt(0)
	v_mul_hi_u32 v1, s9, v5
	v_add_u32_e32 v1, v5, v1
	v_lshrrev_b32_e32 v1, s10, v1
	v_mul_lo_u32 v3, v1, s8
	v_mul_hi_u32 v6, s12, v1
	v_sub_u32_e32 v3, v5, v3
	v_add_u32_e32 v5, v1, v6
	v_lshrrev_b32_e32 v5, s13, v5
	v_mul_lo_u32 v7, v5, s11
	v_mul_hi_u32 v8, s15, v5
	v_sub_u32_e32 v1, v1, v7
	v_add_u32_e32 v7, v5, v8
	v_mul_lo_u32 v6, v3, s1
	v_mul_lo_u32 v3, v3, s0
	;; [unrolled: 1-line block ×4, first 2 shown]
	v_lshrrev_b32_e32 v7, s28, v7
	v_add3_u32 v0, v3, v0, v1
	v_mul_hi_u32 v3, s30, v7
	v_add3_u32 v1, v6, v2, v8
	v_mul_lo_u32 v2, v7, s14
	v_add_u32_e32 v3, v7, v3
	v_sub_u32_e32 v2, v5, v2
	v_lshrrev_b32_e32 v5, s31, v3
	s_add_i32 s59, s59, 4
	v_mul_lo_u32 v3, v5, s29
	s_add_u32 s52, s52, 32
	v_sub_u32_e32 v3, v7, v3
	s_addc_u32 s53, s53, 0
	v_mul_lo_u32 v6, v2, s4
	v_mul_lo_u32 v2, v2, s5
	;; [unrolled: 1-line block ×4, first 2 shown]
	s_cmp_lg_u32 s57, s59
	v_add3_u32 v2, v2, v1, v3
	v_add3_u32 v0, v6, v0, v7
	s_cbranch_scc1 .LBB17_6
; %bb.7:
	v_mov_b32_e32 v1, v2
	s_branch .LBB17_126
.LBB17_8:
	s_andn2_saveexec_b64 s[0:1], s[38:39]
	s_cbranch_execz .LBB17_176
.LBB17_9:
	v_cndmask_b32_e64 v0, 0, 1, s[36:37]
	v_cmp_ne_u32_e64 s[0:1], 1, v0
	s_andn2_b64 vcc, exec, s[36:37]
	s_cbranch_vccnz .LBB17_22
; %bb.10:
	s_cmp_lg_u32 s33, 0
	s_waitcnt lgkmcnt(0)
	s_mov_b32 s26, 0
	s_cbranch_scc0 .LBB17_25
; %bb.11:
	s_min_u32 s27, s54, 15
	s_add_i32 s27, s27, 1
	s_cmp_eq_u32 s54, 2
	s_cbranch_scc1 .LBB17_26
; %bb.12:
	s_and_b32 s26, s27, 28
	s_add_u32 s2, s34, 0xc4
	s_addc_u32 s3, s35, 0
	s_mov_b32 s28, 0
	v_mov_b32_e32 v0, 0
	v_mov_b32_e32 v14, 0
	s_mov_b64 s[24:25], s[34:35]
	v_mov_b32_e32 v2, v4
.LBB17_13:                              ; =>This Inner Loop Header: Depth=1
	s_load_dwordx8 s[12:19], s[24:25], 0x4
	s_load_dwordx4 s[20:23], s[24:25], 0x24
	s_load_dwordx8 s[4:11], s[2:3], 0x0
	s_add_u32 s24, s24, 48
	s_addc_u32 s25, s25, 0
	s_waitcnt lgkmcnt(0)
	v_mul_hi_u32 v1, s13, v2
	v_add_u32_e32 v1, v2, v1
	v_lshrrev_b32_e32 v1, s14, v1
	v_mul_lo_u32 v3, v1, s12
	v_mul_hi_u32 v5, s16, v1
	v_sub_u32_e32 v2, v2, v3
	v_add_u32_e32 v3, v1, v5
	v_lshrrev_b32_e32 v3, s17, v3
	v_mul_lo_u32 v6, v3, s15
	v_mul_hi_u32 v7, s19, v3
	v_sub_u32_e32 v1, v1, v6
	v_add_u32_e32 v6, v3, v7
	v_mul_lo_u32 v5, v2, s5
	v_mul_lo_u32 v2, v2, s4
	;; [unrolled: 1-line block ×4, first 2 shown]
	v_lshrrev_b32_e32 v6, s20, v6
	v_add3_u32 v0, v2, v0, v1
	v_add3_u32 v1, v5, v14, v7
	v_mul_lo_u32 v2, v6, s18
	v_mul_hi_u32 v5, s22, v6
	v_sub_u32_e32 v2, v3, v2
	v_add_u32_e32 v3, v6, v5
	v_mul_lo_u32 v5, v2, s8
	v_mul_lo_u32 v7, v2, s9
	v_lshrrev_b32_e32 v2, s23, v3
	s_add_i32 s28, s28, 4
	v_mul_lo_u32 v3, v2, s21
	s_add_u32 s2, s2, 32
	v_sub_u32_e32 v3, v6, v3
	s_addc_u32 s3, s3, 0
	v_mul_lo_u32 v6, v3, s10
	v_mul_lo_u32 v3, v3, s11
	s_cmp_lg_u32 s26, s28
	v_add3_u32 v14, v7, v1, v3
	v_add3_u32 v0, v5, v0, v6
	s_cbranch_scc1 .LBB17_13
; %bb.14:
	v_mov_b32_e32 v1, v14
	s_and_b32 s6, s27, 3
	s_cmp_eq_u32 s6, 0
	s_cbranch_scc0 .LBB17_27
	s_branch .LBB17_29
.LBB17_15:
	s_or_b64 exec, exec, s[48:49]
	v_cmp_gt_i32_e32 vcc, s55, v4
	s_and_saveexec_b64 s[48:49], vcc
	s_cbranch_execz .LBB17_145
.LBB17_16:
	s_andn2_b64 vcc, exec, s[36:37]
	s_cbranch_vccnz .LBB17_24
; %bb.17:
	s_andn2_b64 vcc, exec, s[46:47]
	s_cbranch_vccnz .LBB17_124
; %bb.18:
	s_add_i32 s58, s56, 1
	s_cmp_eq_u32 s54, 2
	s_cbranch_scc1 .LBB17_154
; %bb.19:
	s_and_b32 s57, s58, 28
	s_mov_b32 s59, 0
	v_mov_b32_e32 v0, 0
	v_mov_b32_e32 v2, 0
	s_mov_b64 s[50:51], s[34:35]
	s_mov_b64 s[52:53], s[44:45]
	v_mov_b32_e32 v5, v4
.LBB17_20:                              ; =>This Inner Loop Header: Depth=1
	s_load_dwordx8 s[8:15], s[50:51], 0x4
	s_load_dwordx4 s[28:31], s[50:51], 0x24
	s_load_dwordx8 s[0:7], s[52:53], 0x0
	s_add_u32 s50, s50, 48
	s_addc_u32 s51, s51, 0
	s_waitcnt lgkmcnt(0)
	v_mul_hi_u32 v1, s9, v5
	v_add_u32_e32 v1, v5, v1
	v_lshrrev_b32_e32 v1, s10, v1
	v_mul_lo_u32 v3, v1, s8
	v_mul_hi_u32 v6, s12, v1
	v_sub_u32_e32 v3, v5, v3
	v_add_u32_e32 v5, v1, v6
	v_lshrrev_b32_e32 v5, s13, v5
	v_mul_lo_u32 v7, v5, s11
	v_mul_hi_u32 v8, s15, v5
	v_sub_u32_e32 v1, v1, v7
	v_add_u32_e32 v7, v5, v8
	v_mul_lo_u32 v6, v3, s1
	v_mul_lo_u32 v3, v3, s0
	;; [unrolled: 1-line block ×4, first 2 shown]
	v_lshrrev_b32_e32 v7, s28, v7
	v_add3_u32 v0, v3, v0, v1
	v_mul_hi_u32 v3, s30, v7
	v_add3_u32 v1, v6, v2, v8
	v_mul_lo_u32 v2, v7, s14
	v_add_u32_e32 v3, v7, v3
	v_sub_u32_e32 v2, v5, v2
	v_lshrrev_b32_e32 v5, s31, v3
	s_add_i32 s59, s59, 4
	v_mul_lo_u32 v3, v5, s29
	s_add_u32 s52, s52, 32
	v_sub_u32_e32 v3, v7, v3
	s_addc_u32 s53, s53, 0
	v_mul_lo_u32 v6, v2, s4
	v_mul_lo_u32 v2, v2, s5
	v_mul_lo_u32 v7, v3, s6
	v_mul_lo_u32 v3, v3, s7
	s_cmp_eq_u32 s57, s59
	v_add3_u32 v2, v2, v1, v3
	v_add3_u32 v0, v6, v0, v7
	s_cbranch_scc0 .LBB17_20
; %bb.21:
	v_mov_b32_e32 v1, v2
	s_branch .LBB17_155
.LBB17_22:
                                        ; implicit-def: $vgpr14
                                        ; implicit-def: $vgpr0
	s_branch .LBB17_30
.LBB17_23:
                                        ; implicit-def: $vgpr2
                                        ; implicit-def: $vgpr0
	s_branch .LBB17_130
.LBB17_24:
                                        ; implicit-def: $vgpr2
                                        ; implicit-def: $vgpr0
	s_branch .LBB17_159
.LBB17_25:
	v_mov_b32_e32 v14, 0
	v_mov_b32_e32 v0, 0
	s_branch .LBB17_29
.LBB17_26:
	v_mov_b32_e32 v0, 0
                                        ; implicit-def: $vgpr14
	v_mov_b32_e32 v1, v0
	v_mov_b32_e32 v2, v4
	s_and_b32 s6, s27, 3
	s_cmp_eq_u32 s6, 0
	s_cbranch_scc1 .LBB17_29
.LBB17_27:
	s_lshl_b32 s2, s26, 3
	s_add_u32 s2, s34, s2
	s_addc_u32 s3, s35, 0
	s_add_u32 s2, s2, 0xc4
	s_addc_u32 s3, s3, 0
	s_mul_i32 s4, s26, 12
	s_add_u32 s4, s34, s4
	s_addc_u32 s5, s35, 0
.LBB17_28:                              ; =>This Inner Loop Header: Depth=1
	s_load_dwordx2 s[8:9], s[4:5], 0x4
	s_load_dword s7, s[4:5], 0xc
	s_load_dwordx2 s[10:11], s[2:3], 0x0
	v_mov_b32_e32 v6, v1
	s_add_u32 s4, s4, 12
	s_waitcnt lgkmcnt(0)
	v_mul_hi_u32 v1, s9, v2
	v_add_u32_e32 v1, v2, v1
	v_lshrrev_b32_e32 v1, s7, v1
	s_addc_u32 s5, s5, 0
	v_mul_lo_u32 v3, v1, s8
	s_add_u32 s2, s2, 8
	v_sub_u32_e32 v3, v2, v3
	s_addc_u32 s3, s3, 0
	s_add_i32 s6, s6, -1
	v_mov_b32_e32 v2, v1
	v_mad_u64_u32 v[14:15], s[8:9], v3, s11, v[6:7]
	v_mad_u64_u32 v[0:1], s[8:9], v3, s10, v[0:1]
	s_cmp_lg_u32 s6, 0
	v_mov_b32_e32 v1, v14
	s_cbranch_scc1 .LBB17_28
.LBB17_29:
	s_cbranch_execnz .LBB17_32
.LBB17_30:
	s_load_dwordx4 s[4:7], s[34:35], 0x4
	s_load_dwordx2 s[2:3], s[34:35], 0xc4
	s_cmp_lt_u32 s33, 2
	s_waitcnt lgkmcnt(0)
	v_mul_hi_u32 v0, s5, v4
	v_add_u32_e32 v0, v4, v0
	v_lshrrev_b32_e32 v1, s6, v0
	v_mul_lo_u32 v0, v1, s4
	v_sub_u32_e32 v0, v4, v0
	v_mul_lo_u32 v14, v0, s3
	v_mul_lo_u32 v0, v0, s2
	s_cbranch_scc1 .LBB17_32
; %bb.31:
	s_load_dwordx4 s[4:7], s[34:35], 0x10
	s_load_dwordx2 s[2:3], s[34:35], 0xcc
	s_waitcnt lgkmcnt(0)
	v_mul_hi_u32 v2, s5, v1
	v_add_u32_e32 v2, v1, v2
	v_lshrrev_b32_e32 v2, s6, v2
	v_mul_lo_u32 v2, v2, s4
	v_sub_u32_e32 v2, v1, v2
	v_mad_u64_u32 v[0:1], s[4:5], v2, s2, v[0:1]
	v_mad_u64_u32 v[14:15], s[2:3], v2, s3, v[14:15]
.LBB17_32:
	s_and_b64 vcc, exec, s[0:1]
	v_add_u32_e32 v5, 0x80, v4
	s_cbranch_vccnz .LBB17_38
; %bb.33:
	s_cmp_lg_u32 s33, 0
	s_waitcnt lgkmcnt(0)
	s_mov_b32 s26, 0
	s_cbranch_scc0 .LBB17_39
; %bb.34:
	s_min_u32 s27, s54, 15
	s_add_i32 s27, s27, 1
	s_cmp_eq_u32 s54, 2
	s_cbranch_scc1 .LBB17_40
; %bb.35:
	s_and_b32 s26, s27, 28
	s_add_u32 s2, s34, 0xc4
	s_addc_u32 s3, s35, 0
	s_mov_b32 s28, 0
	v_mov_b32_e32 v2, 0
	v_mov_b32_e32 v12, 0
	s_mov_b64 s[24:25], s[34:35]
	v_mov_b32_e32 v6, v5
.LBB17_36:                              ; =>This Inner Loop Header: Depth=1
	s_load_dwordx8 s[12:19], s[24:25], 0x4
	s_load_dwordx4 s[20:23], s[24:25], 0x24
	s_load_dwordx8 s[4:11], s[2:3], 0x0
	s_add_u32 s24, s24, 48
	s_addc_u32 s25, s25, 0
	s_waitcnt lgkmcnt(0)
	v_mul_hi_u32 v1, s13, v6
	v_add_u32_e32 v1, v6, v1
	v_lshrrev_b32_e32 v1, s14, v1
	v_mul_lo_u32 v3, v1, s12
	v_mul_hi_u32 v7, s16, v1
	v_sub_u32_e32 v3, v6, v3
	v_add_u32_e32 v6, v1, v7
	v_lshrrev_b32_e32 v6, s17, v6
	v_mul_lo_u32 v8, v6, s15
	v_mul_hi_u32 v9, s19, v6
	v_sub_u32_e32 v1, v1, v8
	v_add_u32_e32 v8, v6, v9
	v_mul_lo_u32 v7, v3, s5
	v_mul_lo_u32 v3, v3, s4
	;; [unrolled: 1-line block ×4, first 2 shown]
	v_lshrrev_b32_e32 v8, s20, v8
	v_add3_u32 v1, v3, v2, v1
	v_add3_u32 v2, v7, v12, v9
	v_mul_lo_u32 v3, v8, s18
	v_mul_hi_u32 v7, s22, v8
	v_sub_u32_e32 v3, v6, v3
	v_add_u32_e32 v6, v8, v7
	v_lshrrev_b32_e32 v6, s23, v6
	s_add_i32 s28, s28, 4
	v_mul_lo_u32 v9, v6, s21
	s_add_u32 s2, s2, 32
	v_sub_u32_e32 v8, v8, v9
	s_addc_u32 s3, s3, 0
	v_mul_lo_u32 v7, v3, s8
	v_mul_lo_u32 v3, v3, s9
	;; [unrolled: 1-line block ×4, first 2 shown]
	s_cmp_lg_u32 s26, s28
	v_add3_u32 v12, v3, v2, v8
	v_add3_u32 v2, v7, v1, v9
	s_cbranch_scc1 .LBB17_36
; %bb.37:
	v_mov_b32_e32 v1, v12
	s_and_b32 s6, s27, 3
	s_cmp_eq_u32 s6, 0
	s_cbranch_scc0 .LBB17_41
	s_branch .LBB17_43
.LBB17_38:
                                        ; implicit-def: $vgpr12
                                        ; implicit-def: $vgpr2
	s_branch .LBB17_44
.LBB17_39:
	v_mov_b32_e32 v12, 0
	v_mov_b32_e32 v2, 0
	s_branch .LBB17_43
.LBB17_40:
	v_mov_b32_e32 v2, 0
                                        ; implicit-def: $vgpr12
	v_mov_b32_e32 v1, v2
	v_mov_b32_e32 v6, v5
	s_and_b32 s6, s27, 3
	s_cmp_eq_u32 s6, 0
	s_cbranch_scc1 .LBB17_43
.LBB17_41:
	s_lshl_b32 s2, s26, 3
	s_add_u32 s2, s34, s2
	s_addc_u32 s3, s35, 0
	s_add_u32 s2, s2, 0xc4
	s_addc_u32 s3, s3, 0
	s_mul_i32 s4, s26, 12
	s_add_u32 s4, s34, s4
	s_addc_u32 s5, s35, 0
.LBB17_42:                              ; =>This Inner Loop Header: Depth=1
	s_load_dwordx2 s[8:9], s[4:5], 0x4
	s_load_dword s7, s[4:5], 0xc
	s_load_dwordx2 s[10:11], s[2:3], 0x0
	v_mov_b32_e32 v8, v1
	s_add_u32 s4, s4, 12
	s_waitcnt lgkmcnt(0)
	v_mul_hi_u32 v1, s9, v6
	v_add_u32_e32 v1, v6, v1
	v_lshrrev_b32_e32 v1, s7, v1
	s_addc_u32 s5, s5, 0
	v_mul_lo_u32 v3, v1, s8
	s_add_u32 s2, s2, 8
	v_sub_u32_e32 v3, v6, v3
	s_addc_u32 s3, s3, 0
	s_add_i32 s6, s6, -1
	v_mad_u64_u32 v[12:13], s[8:9], v3, s11, v[8:9]
	s_cmp_lg_u32 s6, 0
	v_mov_b32_e32 v6, v1
	v_mad_u64_u32 v[2:3], s[8:9], v3, s10, v[2:3]
	v_mov_b32_e32 v1, v12
	s_cbranch_scc1 .LBB17_42
.LBB17_43:
	s_cbranch_execnz .LBB17_46
.LBB17_44:
	s_load_dwordx4 s[4:7], s[34:35], 0x4
	s_load_dwordx2 s[2:3], s[34:35], 0xc4
	s_cmp_lt_u32 s33, 2
	s_waitcnt lgkmcnt(0)
	v_mul_hi_u32 v1, s5, v5
	v_add_u32_e32 v1, v5, v1
	v_lshrrev_b32_e32 v1, s6, v1
	v_mul_lo_u32 v2, v1, s4
	v_sub_u32_e32 v2, v5, v2
	v_mul_lo_u32 v12, v2, s3
	v_mul_lo_u32 v2, v2, s2
	s_cbranch_scc1 .LBB17_46
; %bb.45:
	s_load_dwordx4 s[4:7], s[34:35], 0x10
	s_load_dwordx2 s[2:3], s[34:35], 0xcc
	s_waitcnt lgkmcnt(0)
	v_mul_hi_u32 v3, s5, v1
	v_add_u32_e32 v3, v1, v3
	v_lshrrev_b32_e32 v3, s6, v3
	v_mul_lo_u32 v3, v3, s4
	v_sub_u32_e32 v1, v1, v3
	v_mad_u64_u32 v[2:3], s[4:5], v1, s2, v[2:3]
	v_mad_u64_u32 v[12:13], s[2:3], v1, s3, v[12:13]
.LBB17_46:
	s_and_b64 vcc, exec, s[0:1]
	v_add_u32_e32 v3, 0x100, v4
	s_cbranch_vccnz .LBB17_52
; %bb.47:
	s_cmp_lg_u32 s33, 0
	s_waitcnt lgkmcnt(0)
	s_mov_b32 s26, 0
	s_cbranch_scc0 .LBB17_53
; %bb.48:
	s_min_u32 s27, s54, 15
	s_add_i32 s27, s27, 1
	s_cmp_eq_u32 s54, 2
	s_cbranch_scc1 .LBB17_54
; %bb.49:
	s_and_b32 s26, s27, 28
	s_add_u32 s2, s34, 0xc4
	s_addc_u32 s3, s35, 0
	s_mov_b32 s28, 0
	v_mov_b32_e32 v4, 0
	v_mov_b32_e32 v10, 0
	s_mov_b64 s[24:25], s[34:35]
	v_mov_b32_e32 v6, v3
.LBB17_50:                              ; =>This Inner Loop Header: Depth=1
	s_load_dwordx8 s[12:19], s[24:25], 0x4
	s_load_dwordx4 s[20:23], s[24:25], 0x24
	s_load_dwordx8 s[4:11], s[2:3], 0x0
	s_add_u32 s24, s24, 48
	s_addc_u32 s25, s25, 0
	s_waitcnt lgkmcnt(0)
	v_mul_hi_u32 v1, s13, v6
	v_add_u32_e32 v1, v6, v1
	v_lshrrev_b32_e32 v1, s14, v1
	v_mul_lo_u32 v5, v1, s12
	v_mul_hi_u32 v7, s16, v1
	v_sub_u32_e32 v5, v6, v5
	v_add_u32_e32 v6, v1, v7
	v_lshrrev_b32_e32 v6, s17, v6
	v_mul_lo_u32 v8, v6, s15
	v_mul_hi_u32 v9, s19, v6
	v_sub_u32_e32 v1, v1, v8
	v_add_u32_e32 v8, v6, v9
	v_mul_lo_u32 v7, v5, s5
	v_mul_lo_u32 v5, v5, s4
	;; [unrolled: 1-line block ×4, first 2 shown]
	v_lshrrev_b32_e32 v8, s20, v8
	v_add3_u32 v1, v5, v4, v1
	v_add3_u32 v4, v7, v10, v9
	v_mul_lo_u32 v5, v8, s18
	v_mul_hi_u32 v7, s22, v8
	v_sub_u32_e32 v5, v6, v5
	v_add_u32_e32 v6, v8, v7
	v_lshrrev_b32_e32 v6, s23, v6
	s_add_i32 s28, s28, 4
	v_mul_lo_u32 v9, v6, s21
	s_add_u32 s2, s2, 32
	v_sub_u32_e32 v8, v8, v9
	s_addc_u32 s3, s3, 0
	v_mul_lo_u32 v7, v5, s8
	v_mul_lo_u32 v5, v5, s9
	;; [unrolled: 1-line block ×4, first 2 shown]
	s_cmp_lg_u32 s26, s28
	v_add3_u32 v10, v5, v4, v8
	v_add3_u32 v4, v7, v1, v9
	s_cbranch_scc1 .LBB17_50
; %bb.51:
	v_mov_b32_e32 v1, v10
	s_and_b32 s6, s27, 3
	s_cmp_eq_u32 s6, 0
	s_cbranch_scc0 .LBB17_55
	s_branch .LBB17_57
.LBB17_52:
                                        ; implicit-def: $vgpr10
                                        ; implicit-def: $vgpr4
	s_branch .LBB17_58
.LBB17_53:
	v_mov_b32_e32 v10, 0
	v_mov_b32_e32 v4, 0
	s_branch .LBB17_57
.LBB17_54:
	v_mov_b32_e32 v4, 0
                                        ; implicit-def: $vgpr10
	v_mov_b32_e32 v1, v4
	v_mov_b32_e32 v6, v3
	s_and_b32 s6, s27, 3
	s_cmp_eq_u32 s6, 0
	s_cbranch_scc1 .LBB17_57
.LBB17_55:
	s_lshl_b32 s2, s26, 3
	s_add_u32 s2, s34, s2
	s_addc_u32 s3, s35, 0
	s_add_u32 s2, s2, 0xc4
	s_addc_u32 s3, s3, 0
	s_mul_i32 s4, s26, 12
	s_add_u32 s4, s34, s4
	s_addc_u32 s5, s35, 0
.LBB17_56:                              ; =>This Inner Loop Header: Depth=1
	s_load_dwordx2 s[8:9], s[4:5], 0x4
	s_load_dword s7, s[4:5], 0xc
	s_load_dwordx2 s[10:11], s[2:3], 0x0
	v_mov_b32_e32 v8, v1
	s_add_u32 s4, s4, 12
	s_waitcnt lgkmcnt(0)
	v_mul_hi_u32 v1, s9, v6
	v_add_u32_e32 v1, v6, v1
	v_lshrrev_b32_e32 v1, s7, v1
	s_addc_u32 s5, s5, 0
	v_mul_lo_u32 v5, v1, s8
	s_add_u32 s2, s2, 8
	v_sub_u32_e32 v5, v6, v5
	s_addc_u32 s3, s3, 0
	s_add_i32 s6, s6, -1
	v_mad_u64_u32 v[10:11], s[8:9], v5, s11, v[8:9]
	s_cmp_lg_u32 s6, 0
	v_mov_b32_e32 v6, v1
	v_mad_u64_u32 v[4:5], s[8:9], v5, s10, v[4:5]
	v_mov_b32_e32 v1, v10
	s_cbranch_scc1 .LBB17_56
.LBB17_57:
	s_cbranch_execnz .LBB17_60
.LBB17_58:
	s_load_dwordx4 s[4:7], s[34:35], 0x4
	s_load_dwordx2 s[2:3], s[34:35], 0xc4
	s_cmp_lt_u32 s33, 2
	s_waitcnt lgkmcnt(0)
	v_mul_hi_u32 v1, s5, v3
	v_add_u32_e32 v1, v3, v1
	v_lshrrev_b32_e32 v1, s6, v1
	v_mul_lo_u32 v4, v1, s4
	v_sub_u32_e32 v3, v3, v4
	v_mul_lo_u32 v10, v3, s3
	v_mul_lo_u32 v4, v3, s2
	s_cbranch_scc1 .LBB17_60
; %bb.59:
	s_load_dwordx4 s[4:7], s[34:35], 0x10
	s_load_dwordx2 s[2:3], s[34:35], 0xcc
	s_waitcnt lgkmcnt(0)
	v_mul_hi_u32 v3, s5, v1
	v_add_u32_e32 v3, v1, v3
	v_lshrrev_b32_e32 v3, s6, v3
	v_mul_lo_u32 v3, v3, s4
	v_sub_u32_e32 v1, v1, v3
	v_mad_u64_u32 v[4:5], s[4:5], v1, s2, v[4:5]
	v_mad_u64_u32 v[10:11], s[2:3], v1, s3, v[10:11]
.LBB17_60:
	s_and_b64 vcc, exec, s[0:1]
	s_cbranch_vccnz .LBB17_66
; %bb.61:
	s_cmp_lg_u32 s33, 0
	s_waitcnt lgkmcnt(0)
	s_mov_b32 s24, 0
	s_cbranch_scc0 .LBB17_67
; %bb.62:
	s_min_u32 s25, s54, 15
	s_add_i32 s25, s25, 1
	s_cmp_eq_u32 s54, 2
	s_cbranch_scc1 .LBB17_68
; %bb.63:
	s_and_b32 s24, s25, 28
	s_add_u32 s20, s34, 0xc4
	s_addc_u32 s21, s35, 0
	s_mov_b32 s26, 0
	v_mov_b32_e32 v6, 0
	v_mov_b32_e32 v8, 0
	s_mov_b64 s[22:23], s[34:35]
	v_mov_b32_e32 v3, v16
.LBB17_64:                              ; =>This Inner Loop Header: Depth=1
	s_load_dwordx8 s[8:15], s[22:23], 0x4
	s_load_dwordx4 s[16:19], s[22:23], 0x24
	s_load_dwordx8 s[0:7], s[20:21], 0x0
	s_add_u32 s22, s22, 48
	s_addc_u32 s23, s23, 0
	s_waitcnt lgkmcnt(0)
	v_mul_hi_u32 v1, s9, v3
	v_add_u32_e32 v1, v3, v1
	v_lshrrev_b32_e32 v1, s10, v1
	v_mul_lo_u32 v5, v1, s8
	v_mul_hi_u32 v7, s12, v1
	v_sub_u32_e32 v3, v3, v5
	v_add_u32_e32 v5, v1, v7
	v_lshrrev_b32_e32 v5, s13, v5
	v_mul_lo_u32 v9, v5, s11
	v_mul_hi_u32 v11, s15, v5
	v_sub_u32_e32 v1, v1, v9
	v_add_u32_e32 v9, v5, v11
	v_mul_lo_u32 v7, v3, s1
	v_mul_lo_u32 v3, v3, s0
	;; [unrolled: 1-line block ×4, first 2 shown]
	v_lshrrev_b32_e32 v9, s16, v9
	v_add3_u32 v1, v3, v6, v1
	v_add3_u32 v6, v7, v8, v11
	v_mul_lo_u32 v3, v9, s14
	v_mul_hi_u32 v7, s18, v9
	v_sub_u32_e32 v3, v5, v3
	v_add_u32_e32 v5, v9, v7
	v_mul_lo_u32 v7, v3, s4
	v_mul_lo_u32 v8, v3, s5
	v_lshrrev_b32_e32 v3, s19, v5
	s_add_i32 s26, s26, 4
	v_mul_lo_u32 v5, v3, s17
	s_add_u32 s20, s20, 32
	v_sub_u32_e32 v5, v9, v5
	s_addc_u32 s21, s21, 0
	v_mul_lo_u32 v9, v5, s6
	v_mul_lo_u32 v5, v5, s7
	s_cmp_lg_u32 s24, s26
	v_add3_u32 v8, v8, v6, v5
	v_add3_u32 v6, v7, v1, v9
	s_cbranch_scc1 .LBB17_64
; %bb.65:
	v_mov_b32_e32 v1, v8
	s_and_b32 s4, s25, 3
	s_cmp_eq_u32 s4, 0
	s_cbranch_scc0 .LBB17_69
	s_branch .LBB17_71
.LBB17_66:
                                        ; implicit-def: $vgpr8
                                        ; implicit-def: $vgpr6
	s_branch .LBB17_72
.LBB17_67:
	v_mov_b32_e32 v8, 0
	v_mov_b32_e32 v6, 0
	s_branch .LBB17_71
.LBB17_68:
	v_mov_b32_e32 v6, 0
                                        ; implicit-def: $vgpr8
	v_mov_b32_e32 v1, v6
	v_mov_b32_e32 v3, v16
	s_and_b32 s4, s25, 3
	s_cmp_eq_u32 s4, 0
	s_cbranch_scc1 .LBB17_71
.LBB17_69:
	s_lshl_b32 s0, s24, 3
	s_add_u32 s0, s34, s0
	s_addc_u32 s1, s35, 0
	s_add_u32 s0, s0, 0xc4
	s_addc_u32 s1, s1, 0
	s_mul_i32 s2, s24, 12
	s_add_u32 s2, s34, s2
	s_addc_u32 s3, s35, 0
.LBB17_70:                              ; =>This Inner Loop Header: Depth=1
	s_load_dwordx2 s[6:7], s[2:3], 0x4
	s_load_dword s5, s[2:3], 0xc
	s_load_dwordx2 s[8:9], s[0:1], 0x0
	v_mov_b32_e32 v8, v1
	s_add_u32 s2, s2, 12
	s_waitcnt lgkmcnt(0)
	v_mul_hi_u32 v1, s7, v3
	v_add_u32_e32 v1, v3, v1
	v_lshrrev_b32_e32 v1, s5, v1
	s_addc_u32 s3, s3, 0
	v_mul_lo_u32 v5, v1, s6
	s_add_u32 s0, s0, 8
	v_sub_u32_e32 v5, v3, v5
	s_addc_u32 s1, s1, 0
	s_add_i32 s4, s4, -1
	v_mad_u64_u32 v[8:9], s[6:7], v5, s9, v[8:9]
	s_cmp_lg_u32 s4, 0
	v_mov_b32_e32 v3, v1
	v_mad_u64_u32 v[6:7], s[6:7], v5, s8, v[6:7]
	v_mov_b32_e32 v1, v8
	s_cbranch_scc1 .LBB17_70
.LBB17_71:
	s_cbranch_execnz .LBB17_74
.LBB17_72:
	s_load_dwordx4 s[0:3], s[34:35], 0x4
	s_load_dwordx2 s[4:5], s[34:35], 0xc4
	s_cmp_lt_u32 s33, 2
	s_waitcnt lgkmcnt(0)
	v_mul_hi_u32 v1, s1, v16
	v_add_u32_e32 v1, v16, v1
	v_lshrrev_b32_e32 v1, s2, v1
	v_mul_lo_u32 v3, v1, s0
	v_sub_u32_e32 v3, v16, v3
	v_mul_lo_u32 v8, v3, s5
	v_mul_lo_u32 v6, v3, s4
	s_cbranch_scc1 .LBB17_74
; %bb.73:
	s_load_dwordx4 s[0:3], s[34:35], 0x10
	s_load_dwordx2 s[4:5], s[34:35], 0xcc
	s_waitcnt lgkmcnt(0)
	v_mul_hi_u32 v3, s1, v1
	v_add_u32_e32 v3, v1, v3
	v_lshrrev_b32_e32 v3, s2, v3
	v_mul_lo_u32 v3, v3, s0
	v_sub_u32_e32 v1, v1, v3
	v_mad_u64_u32 v[6:7], s[0:1], v1, s4, v[6:7]
	v_mad_u64_u32 v[8:9], s[0:1], v1, s5, v[8:9]
.LBB17_74:
	s_load_dwordx4 s[4:7], s[34:35], 0x148
	s_mov_b32 s0, 0x41000000
                                        ; implicit-def: $vgpr1
	s_waitcnt lgkmcnt(0)
	global_load_dword v3, v14, s[6:7]
	s_waitcnt vmcnt(0)
	v_cmp_le_f32_e64 s[0:1], |v3|, s0
	s_and_saveexec_b64 s[2:3], s[0:1]
	s_xor_b64 s[2:3], exec, s[2:3]
	s_cbranch_execz .LBB17_80
; %bb.75:
	v_fma_f32 v1, |v3|, 0.5, -2.0
	v_mov_b32_e32 v5, 0xa3c2be86
	v_fmac_f32_e32 v5, 0x224cf950, v1
	v_fmaak_f32 v7, v1, v5, 0xa24cf950
	v_add_f32_e32 v7, 0x25331f1f, v7
	v_fma_f32 v5, v1, v7, -v5
	v_add_f32_e32 v5, 0xa69f5554, v5
	v_fma_f32 v7, v1, v5, -v7
	;; [unrolled: 2-line block ×25, first 2 shown]
	v_add_f32_e32 v5, 0xbe34a688, v5
	s_mov_b32 s0, 0x3fb8aa3b
	v_fma_f32 v1, v1, v5, -v7
	v_mul_f32_e64 v5, |v3|, s0
	v_rndne_f32_e32 v9, v5
	v_sub_f32_e32 v11, v5, v9
	v_fma_f32 v5, |v3|, s0, -v5
	s_mov_b32 s0, 0x32a5705f
	v_fma_f32 v5, |v3|, s0, v5
	v_add_f32_e32 v5, v11, v5
	v_exp_f32_e32 v11, v5
	v_cvt_i32_f32_e32 v9, v9
	v_add_f32_e32 v1, 0x3e81531c, v1
	v_sub_f32_e32 v1, v1, v7
	v_mul_f32_e32 v1, 0.5, v1
	s_mov_b32 s0, 0xc2ce8ed0
	v_mul_f32_e64 v5, |v3|, v1
	v_ldexp_f32 v1, v11, v9
	v_cmp_nlt_f32_e64 s[0:1], |v3|, s0
	v_mov_b32_e32 v7, 0x7f800000
	v_cmp_ngt_f32_e32 vcc, 0, v3
	v_cndmask_b32_e64 v1, 0, v1, s[0:1]
	s_mov_b32 s0, 0x42b17218
	v_cmp_ngt_f32_e64 s[0:1], |v3|, s0
	s_nop 1
	v_cndmask_b32_e64 v3, v7, v1, s[0:1]
                                        ; implicit-def: $vgpr1
	s_and_saveexec_b64 s[0:1], vcc
	s_xor_b64 s[0:1], exec, s[0:1]
; %bb.76:
	v_mul_f32_e32 v1, v3, v5
                                        ; implicit-def: $vgpr3
                                        ; implicit-def: $vgpr5
; %bb.77:
	s_andn2_saveexec_b64 s[0:1], s[0:1]
; %bb.78:
	v_mul_f32_e64 v1, v5, -v3
; %bb.79:
	s_or_b64 exec, exec, s[0:1]
                                        ; implicit-def: $vgpr3
.LBB17_80:
	s_andn2_saveexec_b64 s[2:3], s[2:3]
	s_cbranch_execz .LBB17_86
; %bb.81:
	v_and_b32_e32 v1, 0x7fffffff, v3
	s_mov_b32 s8, 0x42000000
	v_div_scale_f32 v5, s[0:1], v1, v1, s8
	v_rcp_f32_e32 v7, v5
	v_div_scale_f32 v1, vcc, s8, v1, s8
	s_mov_b32 s0, 0x3fb8aa3b
	v_fma_f32 v9, -v5, v7, 1.0
	v_fmac_f32_e32 v7, v9, v7
	v_mul_f32_e32 v9, v1, v7
	v_fma_f32 v11, -v5, v9, v1
	v_fmac_f32_e32 v9, v11, v7
	v_fma_f32 v1, -v5, v9, v1
	v_div_fmas_f32 v1, v1, v7, v9
	v_div_fixup_f32 v1, v1, |v3|, s8
	v_add_f32_e32 v1, -2.0, v1
	v_mov_b32_e32 v5, 0x22a2dc57
	v_fmac_f32_e32 v5, 0x230aab6e, v1
	v_fmaak_f32 v7, v1, v5, 0xa30aab6e
	v_add_f32_e32 v7, 0xa456751e, v7
	v_fma_f32 v5, v1, v7, -v5
	v_add_f32_e32 v5, 0xa4140365, v5
	v_fma_f32 v7, v1, v5, -v7
	;; [unrolled: 2-line block ×17, first 2 shown]
	v_add_f32_e32 v5, 0xb2e20a9d, v5
	v_mul_f32_e64 v9, |v3|, s0
	v_fma_f32 v7, v1, v5, -v7
	v_rndne_f32_e32 v11, v9
	v_add_f32_e32 v7, 0xb486dfe9, v7
	v_sub_f32_e32 v13, v9, v11
	v_fma_f32 v9, |v3|, s0, -v9
	s_mov_b32 s0, 0x32a5705f
	v_fma_f32 v5, v1, v7, -v5
	v_fma_f32 v9, |v3|, s0, v9
	v_add_f32_e32 v5, 0xb68246fa, v5
	v_add_f32_e32 v9, v13, v9
	v_fma_f32 v7, v1, v5, -v7
	v_exp_f32_e32 v9, v9
	v_cvt_i32_f32_e32 v11, v11
	v_add_f32_e32 v7, 0xb8e7ebfc, v7
	v_fma_f32 v5, v1, v7, -v5
	v_add_f32_e32 v5, 0xbc1fed03, v5
	s_mov_b32 s0, 0xc2ce8ed0
	v_fma_f32 v1, v1, v5, -v7
	v_ldexp_f32 v5, v9, v11
	v_cmp_nlt_f32_e64 s[0:1], |v3|, s0
	v_add_f32_e32 v1, 0x3f4750c6, v1
	v_mov_b32_e32 v9, 0x7f800000
	v_cndmask_b32_e64 v5, 0, v5, s[0:1]
	s_mov_b32 s0, 0x42b17218
	v_cmp_ngt_f32_e64 s[0:1], |v3|, s0
	v_cmp_ngt_f32_e32 vcc, 0, v3
	v_sub_f32_e32 v7, v1, v7
	v_cndmask_b32_e64 v5, v9, v5, s[0:1]
                                        ; implicit-def: $vgpr1
	s_and_saveexec_b64 s[0:1], vcc
	s_xor_b64 s[8:9], exec, s[0:1]
	s_cbranch_execz .LBB17_83
; %bb.82:
	s_mov_b32 s0, 0xf800000
	s_mov_b32 s1, 0x4f800000
	v_mul_f32_e64 v1, |v3|, s1
	v_cmp_lt_f32_e64 vcc, |v3|, s0
	v_mul_f32_e32 v7, 0.5, v7
	v_mul_f32_e32 v5, v5, v7
	v_cndmask_b32_e64 v1, |v3|, v1, vcc
	v_sqrt_f32_e32 v3, v1
	s_nop 0
	v_add_u32_e32 v7, -1, v3
	v_fma_f32 v9, -v7, v3, v1
	v_cmp_ge_f32_e64 s[0:1], 0, v9
	v_add_u32_e32 v9, 1, v3
	s_nop 0
	v_cndmask_b32_e64 v7, v3, v7, s[0:1]
	v_fma_f32 v3, -v9, v3, v1
	v_cmp_lt_f32_e64 s[0:1], 0, v3
	s_nop 1
	v_cndmask_b32_e64 v3, v7, v9, s[0:1]
	v_mul_f32_e32 v7, 0x37800000, v3
	v_cndmask_b32_e32 v3, v3, v7, vcc
	v_mov_b32_e32 v7, 0x260
	v_cmp_class_f32_e32 vcc, v1, v7
	s_nop 1
	v_cndmask_b32_e32 v1, v3, v1, vcc
	v_div_scale_f32 v3, s[0:1], v1, v1, v5
	v_rcp_f32_e32 v7, v3
	s_nop 0
	v_fma_f32 v9, -v3, v7, 1.0
	v_fmac_f32_e32 v7, v9, v7
	v_div_scale_f32 v9, vcc, v5, v1, v5
	v_mul_f32_e32 v11, v9, v7
	v_fma_f32 v13, -v3, v11, v9
	v_fmac_f32_e32 v11, v13, v7
	v_fma_f32 v3, -v3, v11, v9
	v_div_fmas_f32 v3, v3, v7, v11
	v_div_fixup_f32 v1, v3, v1, v5
                                        ; implicit-def: $vgpr3
                                        ; implicit-def: $vgpr7
                                        ; implicit-def: $vgpr5
.LBB17_83:
	s_andn2_saveexec_b64 s[8:9], s[8:9]
	s_cbranch_execz .LBB17_85
; %bb.84:
	s_mov_b32 s0, 0xf800000
	s_mov_b32 s1, 0x4f800000
	v_mul_f32_e64 v1, |v3|, s1
	v_cmp_lt_f32_e64 vcc, |v3|, s0
	s_nop 1
	v_cndmask_b32_e64 v1, |v3|, v1, vcc
	v_sqrt_f32_e32 v3, v1
	s_nop 0
	v_add_u32_e32 v9, -1, v3
	v_fma_f32 v11, -v9, v3, v1
	v_cmp_ge_f32_e64 s[0:1], 0, v11
	v_add_u32_e32 v11, 1, v3
	s_nop 0
	v_cndmask_b32_e64 v9, v3, v9, s[0:1]
	v_fma_f32 v3, -v11, v3, v1
	v_cmp_lt_f32_e64 s[0:1], 0, v3
	s_nop 1
	v_cndmask_b32_e64 v3, v9, v11, s[0:1]
	v_mul_f32_e32 v9, 0x37800000, v3
	v_cndmask_b32_e32 v3, v3, v9, vcc
	v_mov_b32_e32 v9, 0x260
	v_cmp_class_f32_e32 vcc, v1, v9
	s_nop 1
	v_cndmask_b32_e32 v1, v3, v1, vcc
	v_mul_f32_e32 v3, -0.5, v7
	v_mul_f32_e32 v3, v5, v3
	v_div_scale_f32 v5, s[0:1], v1, v1, v3
	v_rcp_f32_e32 v7, v5
	s_nop 0
	v_fma_f32 v9, -v5, v7, 1.0
	v_fmac_f32_e32 v7, v9, v7
	v_div_scale_f32 v9, vcc, v3, v1, v3
	v_mul_f32_e32 v11, v9, v7
	v_fma_f32 v13, -v5, v11, v9
	v_fmac_f32_e32 v11, v13, v7
	v_fma_f32 v5, -v5, v11, v9
	v_div_fmas_f32 v5, v5, v7, v11
	v_div_fixup_f32 v1, v5, v1, v3
.LBB17_85:
	s_or_b64 exec, exec, s[8:9]
.LBB17_86:
	s_or_b64 exec, exec, s[2:3]
	global_load_dword v5, v12, s[6:7]
	s_mov_b32 s0, 0x41000000
                                        ; implicit-def: $vgpr3
	s_waitcnt vmcnt(0)
	v_cmp_le_f32_e64 s[0:1], |v5|, s0
	s_and_saveexec_b64 s[2:3], s[0:1]
	s_xor_b64 s[2:3], exec, s[2:3]
	s_cbranch_execz .LBB17_92
; %bb.87:
	v_fma_f32 v3, |v5|, 0.5, -2.0
	v_mov_b32_e32 v7, 0xa3c2be86
	v_fmac_f32_e32 v7, 0x224cf950, v3
	v_fmaak_f32 v9, v3, v7, 0xa24cf950
	v_add_f32_e32 v9, 0x25331f1f, v9
	v_fma_f32 v7, v3, v9, -v7
	v_add_f32_e32 v7, 0xa69f5554, v7
	v_fma_f32 v9, v3, v7, -v9
	;; [unrolled: 2-line block ×25, first 2 shown]
	v_add_f32_e32 v7, 0xbe34a688, v7
	s_mov_b32 s0, 0x3fb8aa3b
	v_fma_f32 v3, v3, v7, -v9
	v_mul_f32_e64 v7, |v5|, s0
	v_rndne_f32_e32 v11, v7
	v_sub_f32_e32 v12, v7, v11
	v_fma_f32 v7, |v5|, s0, -v7
	s_mov_b32 s0, 0x32a5705f
	v_fma_f32 v7, |v5|, s0, v7
	v_add_f32_e32 v7, v12, v7
	v_exp_f32_e32 v12, v7
	v_cvt_i32_f32_e32 v11, v11
	v_add_f32_e32 v3, 0x3e81531c, v3
	v_sub_f32_e32 v3, v3, v9
	v_mul_f32_e32 v3, 0.5, v3
	s_mov_b32 s0, 0xc2ce8ed0
	v_mul_f32_e64 v7, |v5|, v3
	v_ldexp_f32 v3, v12, v11
	v_cmp_nlt_f32_e64 s[0:1], |v5|, s0
	v_mov_b32_e32 v9, 0x7f800000
	v_cmp_ngt_f32_e32 vcc, 0, v5
	v_cndmask_b32_e64 v3, 0, v3, s[0:1]
	s_mov_b32 s0, 0x42b17218
	v_cmp_ngt_f32_e64 s[0:1], |v5|, s0
	s_nop 1
	v_cndmask_b32_e64 v5, v9, v3, s[0:1]
                                        ; implicit-def: $vgpr3
	s_and_saveexec_b64 s[0:1], vcc
	s_xor_b64 s[0:1], exec, s[0:1]
; %bb.88:
	v_mul_f32_e32 v3, v5, v7
                                        ; implicit-def: $vgpr5
                                        ; implicit-def: $vgpr7
; %bb.89:
	s_andn2_saveexec_b64 s[0:1], s[0:1]
; %bb.90:
	v_mul_f32_e64 v3, v7, -v5
; %bb.91:
	s_or_b64 exec, exec, s[0:1]
                                        ; implicit-def: $vgpr5
.LBB17_92:
	s_andn2_saveexec_b64 s[2:3], s[2:3]
	s_cbranch_execz .LBB17_98
; %bb.93:
	v_and_b32_e32 v3, 0x7fffffff, v5
	s_mov_b32 s8, 0x42000000
	v_div_scale_f32 v7, s[0:1], v3, v3, s8
	v_rcp_f32_e32 v9, v7
	v_div_scale_f32 v3, vcc, s8, v3, s8
	s_mov_b32 s0, 0x3fb8aa3b
	v_fma_f32 v11, -v7, v9, 1.0
	v_fmac_f32_e32 v9, v11, v9
	v_mul_f32_e32 v11, v3, v9
	v_fma_f32 v12, -v7, v11, v3
	v_fmac_f32_e32 v11, v12, v9
	v_fma_f32 v3, -v7, v11, v3
	v_div_fmas_f32 v3, v3, v9, v11
	v_div_fixup_f32 v3, v3, |v5|, s8
	v_add_f32_e32 v3, -2.0, v3
	v_mov_b32_e32 v7, 0x22a2dc57
	v_fmac_f32_e32 v7, 0x230aab6e, v3
	v_fmaak_f32 v9, v3, v7, 0xa30aab6e
	v_add_f32_e32 v9, 0xa456751e, v9
	v_fma_f32 v7, v3, v9, -v7
	v_add_f32_e32 v7, 0xa4140365, v7
	v_fma_f32 v9, v3, v7, -v9
	;; [unrolled: 2-line block ×17, first 2 shown]
	v_add_f32_e32 v7, 0xb2e20a9d, v7
	v_mul_f32_e64 v11, |v5|, s0
	v_fma_f32 v9, v3, v7, -v9
	v_rndne_f32_e32 v12, v11
	v_add_f32_e32 v9, 0xb486dfe9, v9
	v_sub_f32_e32 v13, v11, v12
	v_fma_f32 v11, |v5|, s0, -v11
	s_mov_b32 s0, 0x32a5705f
	v_fma_f32 v7, v3, v9, -v7
	v_fma_f32 v11, |v5|, s0, v11
	v_add_f32_e32 v7, 0xb68246fa, v7
	v_add_f32_e32 v11, v13, v11
	v_fma_f32 v9, v3, v7, -v9
	v_exp_f32_e32 v11, v11
	v_cvt_i32_f32_e32 v12, v12
	v_add_f32_e32 v9, 0xb8e7ebfc, v9
	v_fma_f32 v7, v3, v9, -v7
	v_add_f32_e32 v7, 0xbc1fed03, v7
	s_mov_b32 s0, 0xc2ce8ed0
	v_fma_f32 v3, v3, v7, -v9
	v_ldexp_f32 v7, v11, v12
	v_cmp_nlt_f32_e64 s[0:1], |v5|, s0
	v_add_f32_e32 v3, 0x3f4750c6, v3
	v_mov_b32_e32 v11, 0x7f800000
	v_cndmask_b32_e64 v7, 0, v7, s[0:1]
	s_mov_b32 s0, 0x42b17218
	v_cmp_ngt_f32_e64 s[0:1], |v5|, s0
	v_cmp_ngt_f32_e32 vcc, 0, v5
	v_sub_f32_e32 v9, v3, v9
	v_cndmask_b32_e64 v7, v11, v7, s[0:1]
                                        ; implicit-def: $vgpr3
	s_and_saveexec_b64 s[0:1], vcc
	s_xor_b64 s[8:9], exec, s[0:1]
	s_cbranch_execz .LBB17_95
; %bb.94:
	s_mov_b32 s0, 0xf800000
	s_mov_b32 s1, 0x4f800000
	v_mul_f32_e64 v3, |v5|, s1
	v_cmp_lt_f32_e64 vcc, |v5|, s0
	v_mul_f32_e32 v9, 0.5, v9
	v_mul_f32_e32 v7, v7, v9
	v_cndmask_b32_e64 v3, |v5|, v3, vcc
	v_sqrt_f32_e32 v5, v3
	s_nop 0
	v_add_u32_e32 v9, -1, v5
	v_fma_f32 v11, -v9, v5, v3
	v_cmp_ge_f32_e64 s[0:1], 0, v11
	v_add_u32_e32 v11, 1, v5
	s_nop 0
	v_cndmask_b32_e64 v9, v5, v9, s[0:1]
	v_fma_f32 v5, -v11, v5, v3
	v_cmp_lt_f32_e64 s[0:1], 0, v5
	s_nop 1
	v_cndmask_b32_e64 v5, v9, v11, s[0:1]
	v_mul_f32_e32 v9, 0x37800000, v5
	v_cndmask_b32_e32 v5, v5, v9, vcc
	v_mov_b32_e32 v9, 0x260
	v_cmp_class_f32_e32 vcc, v3, v9
	s_nop 1
	v_cndmask_b32_e32 v3, v5, v3, vcc
	v_div_scale_f32 v5, s[0:1], v3, v3, v7
	v_rcp_f32_e32 v9, v5
	s_nop 0
	v_fma_f32 v11, -v5, v9, 1.0
	v_fmac_f32_e32 v9, v11, v9
	v_div_scale_f32 v11, vcc, v7, v3, v7
	v_mul_f32_e32 v12, v11, v9
	v_fma_f32 v13, -v5, v12, v11
	v_fmac_f32_e32 v12, v13, v9
	v_fma_f32 v5, -v5, v12, v11
	v_div_fmas_f32 v5, v5, v9, v12
	v_div_fixup_f32 v3, v5, v3, v7
                                        ; implicit-def: $vgpr5
                                        ; implicit-def: $vgpr9
                                        ; implicit-def: $vgpr7
.LBB17_95:
	s_andn2_saveexec_b64 s[8:9], s[8:9]
	s_cbranch_execz .LBB17_97
; %bb.96:
	s_mov_b32 s0, 0xf800000
	s_mov_b32 s1, 0x4f800000
	v_mul_f32_e64 v3, |v5|, s1
	v_cmp_lt_f32_e64 vcc, |v5|, s0
	s_nop 1
	v_cndmask_b32_e64 v3, |v5|, v3, vcc
	v_sqrt_f32_e32 v5, v3
	s_nop 0
	v_add_u32_e32 v11, -1, v5
	v_fma_f32 v12, -v11, v5, v3
	v_cmp_ge_f32_e64 s[0:1], 0, v12
	v_add_u32_e32 v12, 1, v5
	s_nop 0
	v_cndmask_b32_e64 v11, v5, v11, s[0:1]
	v_fma_f32 v5, -v12, v5, v3
	v_cmp_lt_f32_e64 s[0:1], 0, v5
	s_nop 1
	v_cndmask_b32_e64 v5, v11, v12, s[0:1]
	v_mul_f32_e32 v11, 0x37800000, v5
	v_cndmask_b32_e32 v5, v5, v11, vcc
	v_mov_b32_e32 v11, 0x260
	v_cmp_class_f32_e32 vcc, v3, v11
	s_nop 1
	v_cndmask_b32_e32 v3, v5, v3, vcc
	v_mul_f32_e32 v5, -0.5, v9
	v_mul_f32_e32 v5, v7, v5
	v_div_scale_f32 v7, s[0:1], v3, v3, v5
	v_rcp_f32_e32 v9, v7
	s_nop 0
	v_fma_f32 v11, -v7, v9, 1.0
	v_fmac_f32_e32 v9, v11, v9
	v_div_scale_f32 v11, vcc, v5, v3, v5
	v_mul_f32_e32 v12, v11, v9
	v_fma_f32 v13, -v7, v12, v11
	v_fmac_f32_e32 v12, v13, v9
	v_fma_f32 v7, -v7, v12, v11
	v_div_fmas_f32 v7, v7, v9, v12
	v_div_fixup_f32 v3, v7, v3, v5
.LBB17_97:
	s_or_b64 exec, exec, s[8:9]
.LBB17_98:
	s_or_b64 exec, exec, s[2:3]
	global_load_dword v7, v10, s[6:7]
	s_mov_b32 s0, 0x41000000
                                        ; implicit-def: $vgpr5
	s_waitcnt vmcnt(0)
	v_cmp_le_f32_e64 s[0:1], |v7|, s0
	s_and_saveexec_b64 s[2:3], s[0:1]
	s_xor_b64 s[2:3], exec, s[2:3]
	s_cbranch_execz .LBB17_104
; %bb.99:
	v_fma_f32 v5, |v7|, 0.5, -2.0
	v_mov_b32_e32 v9, 0xa3c2be86
	v_fmac_f32_e32 v9, 0x224cf950, v5
	v_fmaak_f32 v10, v5, v9, 0xa24cf950
	v_add_f32_e32 v10, 0x25331f1f, v10
	v_fma_f32 v9, v5, v10, -v9
	v_add_f32_e32 v9, 0xa69f5554, v9
	v_fma_f32 v10, v5, v9, -v10
	;; [unrolled: 2-line block ×25, first 2 shown]
	v_add_f32_e32 v9, 0xbe34a688, v9
	s_mov_b32 s0, 0x3fb8aa3b
	v_fma_f32 v5, v5, v9, -v10
	v_mul_f32_e64 v9, |v7|, s0
	v_rndne_f32_e32 v11, v9
	v_sub_f32_e32 v12, v9, v11
	v_fma_f32 v9, |v7|, s0, -v9
	s_mov_b32 s0, 0x32a5705f
	v_fma_f32 v9, |v7|, s0, v9
	v_add_f32_e32 v9, v12, v9
	v_exp_f32_e32 v12, v9
	v_cvt_i32_f32_e32 v11, v11
	v_add_f32_e32 v5, 0x3e81531c, v5
	v_sub_f32_e32 v5, v5, v10
	v_mul_f32_e32 v5, 0.5, v5
	s_mov_b32 s0, 0xc2ce8ed0
	v_mul_f32_e64 v9, |v7|, v5
	v_ldexp_f32 v5, v12, v11
	v_cmp_nlt_f32_e64 s[0:1], |v7|, s0
	v_mov_b32_e32 v10, 0x7f800000
	v_cmp_ngt_f32_e32 vcc, 0, v7
	v_cndmask_b32_e64 v5, 0, v5, s[0:1]
	s_mov_b32 s0, 0x42b17218
	v_cmp_ngt_f32_e64 s[0:1], |v7|, s0
	s_nop 1
	v_cndmask_b32_e64 v7, v10, v5, s[0:1]
                                        ; implicit-def: $vgpr5
	s_and_saveexec_b64 s[0:1], vcc
	s_xor_b64 s[0:1], exec, s[0:1]
; %bb.100:
	v_mul_f32_e32 v5, v7, v9
                                        ; implicit-def: $vgpr7
                                        ; implicit-def: $vgpr9
; %bb.101:
	s_andn2_saveexec_b64 s[0:1], s[0:1]
; %bb.102:
	v_mul_f32_e64 v5, v9, -v7
; %bb.103:
	s_or_b64 exec, exec, s[0:1]
                                        ; implicit-def: $vgpr7
.LBB17_104:
	s_andn2_saveexec_b64 s[2:3], s[2:3]
	s_cbranch_execz .LBB17_110
; %bb.105:
	v_and_b32_e32 v5, 0x7fffffff, v7
	s_mov_b32 s8, 0x42000000
	v_div_scale_f32 v9, s[0:1], v5, v5, s8
	v_rcp_f32_e32 v10, v9
	v_div_scale_f32 v5, vcc, s8, v5, s8
	s_mov_b32 s0, 0x3fb8aa3b
	v_fma_f32 v11, -v9, v10, 1.0
	v_fmac_f32_e32 v10, v11, v10
	v_mul_f32_e32 v11, v5, v10
	v_fma_f32 v12, -v9, v11, v5
	v_fmac_f32_e32 v11, v12, v10
	v_fma_f32 v5, -v9, v11, v5
	v_div_fmas_f32 v5, v5, v10, v11
	v_div_fixup_f32 v5, v5, |v7|, s8
	v_add_f32_e32 v5, -2.0, v5
	v_mov_b32_e32 v9, 0x22a2dc57
	v_fmac_f32_e32 v9, 0x230aab6e, v5
	v_fmaak_f32 v10, v5, v9, 0xa30aab6e
	v_add_f32_e32 v10, 0xa456751e, v10
	v_fma_f32 v9, v5, v10, -v9
	v_add_f32_e32 v9, 0xa4140365, v9
	v_fma_f32 v10, v5, v9, -v10
	;; [unrolled: 2-line block ×17, first 2 shown]
	v_add_f32_e32 v9, 0xb2e20a9d, v9
	v_mul_f32_e64 v11, |v7|, s0
	v_fma_f32 v10, v5, v9, -v10
	v_rndne_f32_e32 v12, v11
	v_add_f32_e32 v10, 0xb486dfe9, v10
	v_sub_f32_e32 v13, v11, v12
	v_fma_f32 v11, |v7|, s0, -v11
	s_mov_b32 s0, 0x32a5705f
	v_fma_f32 v9, v5, v10, -v9
	v_fma_f32 v11, |v7|, s0, v11
	v_add_f32_e32 v9, 0xb68246fa, v9
	v_add_f32_e32 v11, v13, v11
	v_fma_f32 v10, v5, v9, -v10
	v_exp_f32_e32 v11, v11
	v_cvt_i32_f32_e32 v12, v12
	v_add_f32_e32 v10, 0xb8e7ebfc, v10
	v_fma_f32 v9, v5, v10, -v9
	v_add_f32_e32 v9, 0xbc1fed03, v9
	s_mov_b32 s0, 0xc2ce8ed0
	v_fma_f32 v5, v5, v9, -v10
	v_ldexp_f32 v9, v11, v12
	v_cmp_nlt_f32_e64 s[0:1], |v7|, s0
	v_add_f32_e32 v5, 0x3f4750c6, v5
	v_mov_b32_e32 v11, 0x7f800000
	v_cndmask_b32_e64 v9, 0, v9, s[0:1]
	s_mov_b32 s0, 0x42b17218
	v_cmp_ngt_f32_e64 s[0:1], |v7|, s0
	v_cmp_ngt_f32_e32 vcc, 0, v7
	v_sub_f32_e32 v10, v5, v10
	v_cndmask_b32_e64 v9, v11, v9, s[0:1]
                                        ; implicit-def: $vgpr5
	s_and_saveexec_b64 s[0:1], vcc
	s_xor_b64 s[8:9], exec, s[0:1]
	s_cbranch_execz .LBB17_107
; %bb.106:
	s_mov_b32 s0, 0xf800000
	s_mov_b32 s1, 0x4f800000
	v_mul_f32_e64 v5, |v7|, s1
	v_cmp_lt_f32_e64 vcc, |v7|, s0
	v_mul_f32_e32 v10, 0.5, v10
	v_mul_f32_e32 v9, v9, v10
	v_cndmask_b32_e64 v5, |v7|, v5, vcc
	v_sqrt_f32_e32 v7, v5
	s_nop 0
	v_add_u32_e32 v10, -1, v7
	v_fma_f32 v11, -v10, v7, v5
	v_cmp_ge_f32_e64 s[0:1], 0, v11
	v_add_u32_e32 v11, 1, v7
	s_nop 0
	v_cndmask_b32_e64 v10, v7, v10, s[0:1]
	v_fma_f32 v7, -v11, v7, v5
	v_cmp_lt_f32_e64 s[0:1], 0, v7
	s_nop 1
	v_cndmask_b32_e64 v7, v10, v11, s[0:1]
	v_mul_f32_e32 v10, 0x37800000, v7
	v_cndmask_b32_e32 v7, v7, v10, vcc
	v_mov_b32_e32 v10, 0x260
	v_cmp_class_f32_e32 vcc, v5, v10
	s_nop 1
	v_cndmask_b32_e32 v5, v7, v5, vcc
	v_div_scale_f32 v7, s[0:1], v5, v5, v9
	v_rcp_f32_e32 v10, v7
	s_nop 0
	v_fma_f32 v11, -v7, v10, 1.0
	v_fmac_f32_e32 v10, v11, v10
	v_div_scale_f32 v11, vcc, v9, v5, v9
	v_mul_f32_e32 v12, v11, v10
	v_fma_f32 v13, -v7, v12, v11
	v_fmac_f32_e32 v12, v13, v10
	v_fma_f32 v7, -v7, v12, v11
	v_div_fmas_f32 v7, v7, v10, v12
	v_div_fixup_f32 v5, v7, v5, v9
                                        ; implicit-def: $vgpr7
                                        ; implicit-def: $vgpr10
                                        ; implicit-def: $vgpr9
.LBB17_107:
	s_andn2_saveexec_b64 s[8:9], s[8:9]
	s_cbranch_execz .LBB17_109
; %bb.108:
	s_mov_b32 s0, 0xf800000
	s_mov_b32 s1, 0x4f800000
	v_mul_f32_e64 v5, |v7|, s1
	v_cmp_lt_f32_e64 vcc, |v7|, s0
	s_nop 1
	v_cndmask_b32_e64 v5, |v7|, v5, vcc
	v_sqrt_f32_e32 v7, v5
	s_nop 0
	v_add_u32_e32 v11, -1, v7
	v_fma_f32 v12, -v11, v7, v5
	v_cmp_ge_f32_e64 s[0:1], 0, v12
	v_add_u32_e32 v12, 1, v7
	s_nop 0
	v_cndmask_b32_e64 v11, v7, v11, s[0:1]
	v_fma_f32 v7, -v12, v7, v5
	v_cmp_lt_f32_e64 s[0:1], 0, v7
	s_nop 1
	v_cndmask_b32_e64 v7, v11, v12, s[0:1]
	v_mul_f32_e32 v11, 0x37800000, v7
	v_cndmask_b32_e32 v7, v7, v11, vcc
	v_mov_b32_e32 v11, 0x260
	v_cmp_class_f32_e32 vcc, v5, v11
	s_nop 1
	v_cndmask_b32_e32 v5, v7, v5, vcc
	v_mul_f32_e32 v7, -0.5, v10
	v_mul_f32_e32 v7, v9, v7
	v_div_scale_f32 v9, s[0:1], v5, v5, v7
	v_rcp_f32_e32 v10, v9
	s_nop 0
	v_fma_f32 v11, -v9, v10, 1.0
	v_fmac_f32_e32 v10, v11, v10
	v_div_scale_f32 v11, vcc, v7, v5, v7
	v_mul_f32_e32 v12, v11, v10
	v_fma_f32 v13, -v9, v12, v11
	v_fmac_f32_e32 v12, v13, v10
	v_fma_f32 v9, -v9, v12, v11
	v_div_fmas_f32 v9, v9, v10, v12
	v_div_fixup_f32 v5, v9, v5, v7
.LBB17_109:
	s_or_b64 exec, exec, s[8:9]
.LBB17_110:
	s_or_b64 exec, exec, s[2:3]
	global_load_dword v7, v8, s[6:7]
	s_mov_b32 s0, 0x41000000
                                        ; implicit-def: $vgpr8
	s_waitcnt vmcnt(0)
	v_cmp_le_f32_e64 s[0:1], |v7|, s0
	s_and_saveexec_b64 s[2:3], s[0:1]
	s_xor_b64 s[2:3], exec, s[2:3]
	s_cbranch_execz .LBB17_116
; %bb.111:
	v_fma_f32 v8, |v7|, 0.5, -2.0
	v_mov_b32_e32 v9, 0xa3c2be86
	v_fmac_f32_e32 v9, 0x224cf950, v8
	v_fmaak_f32 v10, v8, v9, 0xa24cf950
	v_add_f32_e32 v10, 0x25331f1f, v10
	v_fma_f32 v9, v8, v10, -v9
	v_add_f32_e32 v9, 0xa69f5554, v9
	v_fma_f32 v10, v8, v9, -v10
	;; [unrolled: 2-line block ×25, first 2 shown]
	v_add_f32_e32 v9, 0xbe34a688, v9
	s_mov_b32 s0, 0x3fb8aa3b
	v_fma_f32 v8, v8, v9, -v10
	v_mul_f32_e64 v9, |v7|, s0
	v_rndne_f32_e32 v11, v9
	v_sub_f32_e32 v12, v9, v11
	v_fma_f32 v9, |v7|, s0, -v9
	s_mov_b32 s0, 0x32a5705f
	v_fma_f32 v9, |v7|, s0, v9
	v_add_f32_e32 v9, v12, v9
	v_exp_f32_e32 v12, v9
	v_cvt_i32_f32_e32 v11, v11
	v_add_f32_e32 v8, 0x3e81531c, v8
	v_sub_f32_e32 v8, v8, v10
	v_mul_f32_e32 v8, 0.5, v8
	s_mov_b32 s0, 0xc2ce8ed0
	v_mul_f32_e64 v9, |v7|, v8
	v_ldexp_f32 v8, v12, v11
	v_cmp_nlt_f32_e64 s[0:1], |v7|, s0
	v_mov_b32_e32 v10, 0x7f800000
	v_cmp_ngt_f32_e32 vcc, 0, v7
	v_cndmask_b32_e64 v8, 0, v8, s[0:1]
	s_mov_b32 s0, 0x42b17218
	v_cmp_ngt_f32_e64 s[0:1], |v7|, s0
	s_nop 1
	v_cndmask_b32_e64 v7, v10, v8, s[0:1]
                                        ; implicit-def: $vgpr8
	s_and_saveexec_b64 s[0:1], vcc
	s_xor_b64 s[0:1], exec, s[0:1]
; %bb.112:
	v_mul_f32_e32 v8, v7, v9
                                        ; implicit-def: $vgpr7
                                        ; implicit-def: $vgpr9
; %bb.113:
	s_andn2_saveexec_b64 s[0:1], s[0:1]
; %bb.114:
	v_mul_f32_e64 v8, v9, -v7
; %bb.115:
	s_or_b64 exec, exec, s[0:1]
                                        ; implicit-def: $vgpr7
.LBB17_116:
	s_andn2_saveexec_b64 s[2:3], s[2:3]
	s_cbranch_execz .LBB17_122
; %bb.117:
	v_and_b32_e32 v8, 0x7fffffff, v7
	s_mov_b32 s6, 0x42000000
	v_div_scale_f32 v9, s[0:1], v8, v8, s6
	v_rcp_f32_e32 v10, v9
	v_div_scale_f32 v8, vcc, s6, v8, s6
	s_mov_b32 s0, 0x3fb8aa3b
	v_fma_f32 v11, -v9, v10, 1.0
	v_fmac_f32_e32 v10, v11, v10
	v_mul_f32_e32 v11, v8, v10
	v_fma_f32 v12, -v9, v11, v8
	v_fmac_f32_e32 v11, v12, v10
	v_fma_f32 v8, -v9, v11, v8
	v_div_fmas_f32 v8, v8, v10, v11
	v_div_fixup_f32 v8, v8, |v7|, s6
	v_add_f32_e32 v8, -2.0, v8
	v_mov_b32_e32 v9, 0x22a2dc57
	v_fmac_f32_e32 v9, 0x230aab6e, v8
	v_fmaak_f32 v10, v8, v9, 0xa30aab6e
	v_add_f32_e32 v10, 0xa456751e, v10
	v_fma_f32 v9, v8, v10, -v9
	v_add_f32_e32 v9, 0xa4140365, v9
	v_fma_f32 v10, v8, v9, -v10
	;; [unrolled: 2-line block ×17, first 2 shown]
	v_add_f32_e32 v9, 0xb2e20a9d, v9
	v_mul_f32_e64 v11, |v7|, s0
	v_fma_f32 v10, v8, v9, -v10
	v_rndne_f32_e32 v12, v11
	v_add_f32_e32 v10, 0xb486dfe9, v10
	v_sub_f32_e32 v13, v11, v12
	v_fma_f32 v11, |v7|, s0, -v11
	s_mov_b32 s0, 0x32a5705f
	v_fma_f32 v9, v8, v10, -v9
	v_fma_f32 v11, |v7|, s0, v11
	v_add_f32_e32 v9, 0xb68246fa, v9
	v_add_f32_e32 v11, v13, v11
	v_fma_f32 v10, v8, v9, -v10
	v_exp_f32_e32 v11, v11
	v_cvt_i32_f32_e32 v12, v12
	v_add_f32_e32 v10, 0xb8e7ebfc, v10
	v_fma_f32 v9, v8, v10, -v9
	v_add_f32_e32 v9, 0xbc1fed03, v9
	s_mov_b32 s0, 0xc2ce8ed0
	v_fma_f32 v8, v8, v9, -v10
	v_ldexp_f32 v9, v11, v12
	v_cmp_nlt_f32_e64 s[0:1], |v7|, s0
	v_add_f32_e32 v8, 0x3f4750c6, v8
	v_mov_b32_e32 v11, 0x7f800000
	v_cndmask_b32_e64 v9, 0, v9, s[0:1]
	s_mov_b32 s0, 0x42b17218
	v_cmp_ngt_f32_e64 s[0:1], |v7|, s0
	v_cmp_ngt_f32_e32 vcc, 0, v7
	v_sub_f32_e32 v10, v8, v10
	v_cndmask_b32_e64 v9, v11, v9, s[0:1]
                                        ; implicit-def: $vgpr8
	s_and_saveexec_b64 s[0:1], vcc
	s_xor_b64 s[6:7], exec, s[0:1]
	s_cbranch_execz .LBB17_119
; %bb.118:
	s_mov_b32 s0, 0xf800000
	s_mov_b32 s1, 0x4f800000
	v_mul_f32_e64 v8, |v7|, s1
	v_cmp_lt_f32_e64 vcc, |v7|, s0
	v_mul_f32_e32 v10, 0.5, v10
	v_mul_f32_e32 v9, v9, v10
	v_cndmask_b32_e64 v7, |v7|, v8, vcc
	v_sqrt_f32_e32 v8, v7
	s_nop 0
	v_add_u32_e32 v10, -1, v8
	v_fma_f32 v11, -v10, v8, v7
	v_cmp_ge_f32_e64 s[0:1], 0, v11
	v_add_u32_e32 v11, 1, v8
	s_nop 0
	v_cndmask_b32_e64 v10, v8, v10, s[0:1]
	v_fma_f32 v8, -v11, v8, v7
	v_cmp_lt_f32_e64 s[0:1], 0, v8
	s_nop 1
	v_cndmask_b32_e64 v8, v10, v11, s[0:1]
	v_mul_f32_e32 v10, 0x37800000, v8
	v_cndmask_b32_e32 v8, v8, v10, vcc
	v_mov_b32_e32 v10, 0x260
	v_cmp_class_f32_e32 vcc, v7, v10
	s_nop 1
	v_cndmask_b32_e32 v7, v8, v7, vcc
	v_div_scale_f32 v8, s[0:1], v7, v7, v9
	v_rcp_f32_e32 v10, v8
	s_nop 0
	v_fma_f32 v11, -v8, v10, 1.0
	v_fmac_f32_e32 v10, v11, v10
	v_div_scale_f32 v11, vcc, v9, v7, v9
	v_mul_f32_e32 v12, v11, v10
	v_fma_f32 v13, -v8, v12, v11
	v_fmac_f32_e32 v12, v13, v10
	v_fma_f32 v8, -v8, v12, v11
	v_div_fmas_f32 v8, v8, v10, v12
	v_div_fixup_f32 v8, v8, v7, v9
                                        ; implicit-def: $vgpr7
                                        ; implicit-def: $vgpr10
                                        ; implicit-def: $vgpr9
.LBB17_119:
	s_andn2_saveexec_b64 s[6:7], s[6:7]
	s_cbranch_execz .LBB17_121
; %bb.120:
	s_mov_b32 s0, 0xf800000
	s_mov_b32 s1, 0x4f800000
	v_mul_f32_e64 v8, |v7|, s1
	v_cmp_lt_f32_e64 vcc, |v7|, s0
	s_nop 1
	v_cndmask_b32_e64 v7, |v7|, v8, vcc
	v_sqrt_f32_e32 v8, v7
	s_nop 0
	v_add_u32_e32 v11, -1, v8
	v_fma_f32 v12, -v11, v8, v7
	v_cmp_ge_f32_e64 s[0:1], 0, v12
	v_add_u32_e32 v12, 1, v8
	s_nop 0
	v_cndmask_b32_e64 v11, v8, v11, s[0:1]
	v_fma_f32 v8, -v12, v8, v7
	v_cmp_lt_f32_e64 s[0:1], 0, v8
	s_nop 1
	v_cndmask_b32_e64 v8, v11, v12, s[0:1]
	v_mul_f32_e32 v11, 0x37800000, v8
	v_cndmask_b32_e32 v8, v8, v11, vcc
	v_mov_b32_e32 v11, 0x260
	v_cmp_class_f32_e32 vcc, v7, v11
	s_nop 1
	v_cndmask_b32_e32 v7, v8, v7, vcc
	v_mul_f32_e32 v8, -0.5, v10
	v_mul_f32_e32 v8, v9, v8
	v_div_scale_f32 v9, s[0:1], v7, v7, v8
	v_rcp_f32_e32 v10, v9
	s_nop 0
	v_fma_f32 v11, -v9, v10, 1.0
	v_fmac_f32_e32 v10, v11, v10
	v_div_scale_f32 v11, vcc, v8, v7, v8
	v_mul_f32_e32 v12, v11, v10
	v_fma_f32 v13, -v9, v12, v11
	v_fmac_f32_e32 v12, v13, v10
	v_fma_f32 v9, -v9, v12, v11
	v_div_fmas_f32 v9, v9, v10, v12
	v_div_fixup_f32 v8, v9, v7, v8
.LBB17_121:
	s_or_b64 exec, exec, s[6:7]
.LBB17_122:
	s_or_b64 exec, exec, s[2:3]
	global_store_dword v0, v1, s[4:5]
	global_store_dword v2, v3, s[4:5]
	;; [unrolled: 1-line block ×4, first 2 shown]
	s_endpgm
.LBB17_123:
	v_mov_b32_e32 v2, 0
	v_mov_b32_e32 v0, 0
	s_branch .LBB17_129
.LBB17_124:
	v_mov_b32_e32 v2, 0
	v_mov_b32_e32 v0, 0
	s_branch .LBB17_158
.LBB17_125:
	v_mov_b32_e32 v0, 0
	s_mov_b32 s57, 0
	v_mov_b32_e32 v1, v0
                                        ; implicit-def: $vgpr2
	v_mov_b32_e32 v5, v4
.LBB17_126:
	s_and_b32 s4, s58, 3
	s_cmp_eq_u32 s4, 0
	s_cbranch_scc1 .LBB17_129
; %bb.127:
	s_lshl_b32 s0, s57, 3
	s_add_u32 s0, s34, s0
	s_addc_u32 s1, s35, 0
	s_add_u32 s0, s0, 0xc4
	s_addc_u32 s1, s1, 0
	s_mul_i32 s2, s57, 12
	s_add_u32 s2, s34, s2
	s_addc_u32 s3, s35, 0
.LBB17_128:                             ; =>This Inner Loop Header: Depth=1
	s_load_dwordx2 s[6:7], s[2:3], 0x4
	s_load_dword s5, s[2:3], 0xc
	s_load_dwordx2 s[8:9], s[0:1], 0x0
	v_mov_b32_e32 v2, v1
	s_add_u32 s2, s2, 12
	s_waitcnt lgkmcnt(0)
	v_mul_hi_u32 v1, s7, v5
	v_add_u32_e32 v1, v5, v1
	v_lshrrev_b32_e32 v1, s5, v1
	s_addc_u32 s3, s3, 0
	v_mul_lo_u32 v3, v1, s6
	s_add_u32 s0, s0, 8
	v_sub_u32_e32 v6, v5, v3
	s_addc_u32 s1, s1, 0
	s_add_i32 s4, s4, -1
	v_mov_b32_e32 v5, v1
	v_mad_u64_u32 v[2:3], s[6:7], v6, s9, v[2:3]
	v_mad_u64_u32 v[0:1], s[6:7], v6, s8, v[0:1]
	s_cmp_lg_u32 s4, 0
	v_mov_b32_e32 v1, v2
	s_cbranch_scc1 .LBB17_128
.LBB17_129:
	s_cbranch_execnz .LBB17_132
.LBB17_130:
	s_waitcnt lgkmcnt(0)
	v_mul_hi_u32 v0, s25, v4
	v_add_u32_e32 v0, v4, v0
	v_lshrrev_b32_e32 v1, s26, v0
	v_mul_lo_u32 v0, v1, s24
	v_sub_u32_e32 v0, v4, v0
	v_mul_lo_u32 v2, v0, s21
	s_andn2_b64 vcc, exec, s[42:43]
	v_mul_lo_u32 v0, v0, s20
	s_cbranch_vccnz .LBB17_132
; %bb.131:
	v_mul_hi_u32 v3, s40, v1
	v_add_u32_e32 v3, v1, v3
	v_lshrrev_b32_e32 v3, s41, v3
	v_mul_lo_u32 v3, v3, s27
	v_sub_u32_e32 v3, v1, v3
	v_mad_u64_u32 v[0:1], s[0:1], v3, s22, v[0:1]
	v_mad_u64_u32 v[2:3], s[0:1], v3, s23, v[2:3]
.LBB17_132:
	s_waitcnt lgkmcnt(0)
	global_load_dword v1, v2, s[18:19]
	s_mov_b32 s0, 0x41000000
                                        ; implicit-def: $vgpr2
	s_waitcnt vmcnt(0)
	v_cmp_le_f32_e64 s[0:1], |v1|, s0
	s_and_saveexec_b64 s[2:3], s[0:1]
	s_xor_b64 s[2:3], exec, s[2:3]
	s_cbranch_execz .LBB17_138
; %bb.133:
	v_fma_f32 v2, |v1|, 0.5, -2.0
	v_mov_b32_e32 v3, 0xa3c2be86
	v_fmac_f32_e32 v3, 0x224cf950, v2
	v_fmaak_f32 v5, v2, v3, 0xa24cf950
	v_add_f32_e32 v5, 0x25331f1f, v5
	v_fma_f32 v3, v2, v5, -v3
	v_add_f32_e32 v3, 0xa69f5554, v3
	v_fma_f32 v5, v2, v3, -v5
	;; [unrolled: 2-line block ×25, first 2 shown]
	v_add_f32_e32 v3, 0xbe34a688, v3
	s_mov_b32 s0, 0x3fb8aa3b
	v_fma_f32 v2, v2, v3, -v5
	v_mul_f32_e64 v3, |v1|, s0
	v_rndne_f32_e32 v6, v3
	v_sub_f32_e32 v7, v3, v6
	v_fma_f32 v3, |v1|, s0, -v3
	s_mov_b32 s0, 0x32a5705f
	v_fma_f32 v3, |v1|, s0, v3
	v_add_f32_e32 v3, v7, v3
	v_exp_f32_e32 v7, v3
	v_cvt_i32_f32_e32 v6, v6
	v_add_f32_e32 v2, 0x3e81531c, v2
	v_sub_f32_e32 v2, v2, v5
	v_mul_f32_e32 v2, 0.5, v2
	s_mov_b32 s0, 0xc2ce8ed0
	v_mul_f32_e64 v3, |v1|, v2
	v_ldexp_f32 v2, v7, v6
	v_cmp_nlt_f32_e64 s[0:1], |v1|, s0
	v_mov_b32_e32 v5, 0x7f800000
	v_cmp_ngt_f32_e32 vcc, 0, v1
	v_cndmask_b32_e64 v2, 0, v2, s[0:1]
	s_mov_b32 s0, 0x42b17218
	v_cmp_ngt_f32_e64 s[0:1], |v1|, s0
	s_nop 1
	v_cndmask_b32_e64 v1, v5, v2, s[0:1]
                                        ; implicit-def: $vgpr2
	s_and_saveexec_b64 s[0:1], vcc
	s_xor_b64 s[0:1], exec, s[0:1]
; %bb.134:
	v_mul_f32_e32 v2, v1, v3
                                        ; implicit-def: $vgpr1
                                        ; implicit-def: $vgpr3
; %bb.135:
	s_andn2_saveexec_b64 s[0:1], s[0:1]
; %bb.136:
	v_mul_f32_e64 v2, v3, -v1
; %bb.137:
	s_or_b64 exec, exec, s[0:1]
                                        ; implicit-def: $vgpr1
.LBB17_138:
	s_andn2_saveexec_b64 s[2:3], s[2:3]
	s_cbranch_execz .LBB17_144
; %bb.139:
	v_and_b32_e32 v2, 0x7fffffff, v1
	s_mov_b32 s4, 0x42000000
	v_div_scale_f32 v3, s[0:1], v2, v2, s4
	v_rcp_f32_e32 v5, v3
	v_div_scale_f32 v2, vcc, s4, v2, s4
	s_mov_b32 s0, 0x3fb8aa3b
	v_fma_f32 v6, -v3, v5, 1.0
	v_fmac_f32_e32 v5, v6, v5
	v_mul_f32_e32 v6, v2, v5
	v_fma_f32 v7, -v3, v6, v2
	v_fmac_f32_e32 v6, v7, v5
	v_fma_f32 v2, -v3, v6, v2
	v_div_fmas_f32 v2, v2, v5, v6
	v_div_fixup_f32 v2, v2, |v1|, s4
	v_add_f32_e32 v2, -2.0, v2
	v_mov_b32_e32 v3, 0x22a2dc57
	v_fmac_f32_e32 v3, 0x230aab6e, v2
	v_fmaak_f32 v5, v2, v3, 0xa30aab6e
	v_add_f32_e32 v5, 0xa456751e, v5
	v_fma_f32 v3, v2, v5, -v3
	v_add_f32_e32 v3, 0xa4140365, v3
	v_fma_f32 v5, v2, v3, -v5
	v_add_f32_e32 v5, 0x25aac8b0, v5
	v_fma_f32 v3, v2, v5, -v3
	v_add_f32_e32 v3, 0x25beb473, v3
	v_fma_f32 v5, v2, v3, -v5
	v_add_f32_e32 v5, 0xa7077e6c, v5
	v_fma_f32 v3, v2, v5, -v3
	v_add_f32_e32 v3, 0xa7896da9, v3
	v_fma_f32 v5, v2, v3, -v5
	v_add_f32_e32 v5, 0x283bb70c, v5
	v_fma_f32 v3, v2, v5, -v3
	v_add_f32_e32 v3, 0x294069e1, v3
	v_fma_f32 v5, v2, v3, -v5
	v_add_f32_e32 v5, 0xa8bd4a41, v5
	v_fma_f32 v3, v2, v5, -v3
	v_add_f32_e32 v3, 0xaae5e22c, v3
	v_fma_f32 v5, v2, v3, -v5
	v_add_f32_e32 v5, 0xab4a9f08, v5
	v_fma_f32 v3, v2, v5, -v3
	v_add_f32_e32 v3, 0x2c0f3ea0, v3
	v_fma_f32 v5, v2, v3, -v5
	v_add_f32_e32 v5, 0x2d7880fb, v5
	v_fma_f32 v3, v2, v5, -v3
	v_add_f32_e32 v3, 0x2e0f0d10, v3
	v_fma_f32 v5, v2, v3, -v5
	v_add_f32_e32 v5, 0xada6e7cf, v5
	v_fma_f32 v3, v2, v5, -v3
	v_add_f32_e32 v3, 0xb019a653, v3
	v_fma_f32 v5, v2, v3, -v5
	v_add_f32_e32 v5, 0xb183c85d, v5
	v_fma_f32 v3, v2, v5, -v3
	v_add_f32_e32 v3, 0xb2e20a9d, v3
	v_mul_f32_e64 v6, |v1|, s0
	v_fma_f32 v5, v2, v3, -v5
	v_rndne_f32_e32 v7, v6
	v_add_f32_e32 v5, 0xb486dfe9, v5
	v_sub_f32_e32 v8, v6, v7
	v_fma_f32 v6, |v1|, s0, -v6
	s_mov_b32 s0, 0x32a5705f
	v_fma_f32 v3, v2, v5, -v3
	v_fma_f32 v6, |v1|, s0, v6
	v_add_f32_e32 v3, 0xb68246fa, v3
	v_add_f32_e32 v6, v8, v6
	v_fma_f32 v5, v2, v3, -v5
	v_exp_f32_e32 v6, v6
	v_cvt_i32_f32_e32 v7, v7
	v_add_f32_e32 v5, 0xb8e7ebfc, v5
	v_fma_f32 v3, v2, v5, -v3
	v_add_f32_e32 v3, 0xbc1fed03, v3
	s_mov_b32 s0, 0xc2ce8ed0
	v_fma_f32 v2, v2, v3, -v5
	v_ldexp_f32 v3, v6, v7
	v_cmp_nlt_f32_e64 s[0:1], |v1|, s0
	v_add_f32_e32 v2, 0x3f4750c6, v2
	v_mov_b32_e32 v6, 0x7f800000
	v_cndmask_b32_e64 v3, 0, v3, s[0:1]
	s_mov_b32 s0, 0x42b17218
	v_cmp_ngt_f32_e64 s[0:1], |v1|, s0
	v_cmp_ngt_f32_e32 vcc, 0, v1
	v_sub_f32_e32 v5, v2, v5
	v_cndmask_b32_e64 v3, v6, v3, s[0:1]
                                        ; implicit-def: $vgpr2
	s_and_saveexec_b64 s[0:1], vcc
	s_xor_b64 s[4:5], exec, s[0:1]
	s_cbranch_execz .LBB17_141
; %bb.140:
	s_mov_b32 s0, 0xf800000
	s_mov_b32 s1, 0x4f800000
	v_mul_f32_e64 v2, |v1|, s1
	v_cmp_lt_f32_e64 vcc, |v1|, s0
	v_mul_f32_e32 v5, 0.5, v5
	v_mul_f32_e32 v3, v3, v5
	v_cndmask_b32_e64 v1, |v1|, v2, vcc
	v_sqrt_f32_e32 v2, v1
	s_nop 0
	v_add_u32_e32 v5, -1, v2
	v_fma_f32 v6, -v5, v2, v1
	v_cmp_ge_f32_e64 s[0:1], 0, v6
	v_add_u32_e32 v6, 1, v2
	s_nop 0
	v_cndmask_b32_e64 v5, v2, v5, s[0:1]
	v_fma_f32 v2, -v6, v2, v1
	v_cmp_lt_f32_e64 s[0:1], 0, v2
	s_nop 1
	v_cndmask_b32_e64 v2, v5, v6, s[0:1]
	v_mul_f32_e32 v5, 0x37800000, v2
	v_cndmask_b32_e32 v2, v2, v5, vcc
	v_mov_b32_e32 v5, 0x260
	v_cmp_class_f32_e32 vcc, v1, v5
	s_nop 1
	v_cndmask_b32_e32 v1, v2, v1, vcc
	v_div_scale_f32 v2, s[0:1], v1, v1, v3
	v_rcp_f32_e32 v5, v2
	s_nop 0
	v_fma_f32 v6, -v2, v5, 1.0
	v_fmac_f32_e32 v5, v6, v5
	v_div_scale_f32 v6, vcc, v3, v1, v3
	v_mul_f32_e32 v7, v6, v5
	v_fma_f32 v8, -v2, v7, v6
	v_fmac_f32_e32 v7, v8, v5
	v_fma_f32 v2, -v2, v7, v6
	v_div_fmas_f32 v2, v2, v5, v7
	v_div_fixup_f32 v2, v2, v1, v3
                                        ; implicit-def: $vgpr1
                                        ; implicit-def: $vgpr5
                                        ; implicit-def: $vgpr3
.LBB17_141:
	s_andn2_saveexec_b64 s[4:5], s[4:5]
	s_cbranch_execz .LBB17_143
; %bb.142:
	s_mov_b32 s0, 0xf800000
	s_mov_b32 s1, 0x4f800000
	v_mul_f32_e64 v2, |v1|, s1
	v_cmp_lt_f32_e64 vcc, |v1|, s0
	s_nop 1
	v_cndmask_b32_e64 v1, |v1|, v2, vcc
	v_sqrt_f32_e32 v2, v1
	s_nop 0
	v_add_u32_e32 v6, -1, v2
	v_fma_f32 v7, -v6, v2, v1
	v_cmp_ge_f32_e64 s[0:1], 0, v7
	v_add_u32_e32 v7, 1, v2
	s_nop 0
	v_cndmask_b32_e64 v6, v2, v6, s[0:1]
	v_fma_f32 v2, -v7, v2, v1
	v_cmp_lt_f32_e64 s[0:1], 0, v2
	s_nop 1
	v_cndmask_b32_e64 v2, v6, v7, s[0:1]
	v_mul_f32_e32 v6, 0x37800000, v2
	v_cndmask_b32_e32 v2, v2, v6, vcc
	v_mov_b32_e32 v6, 0x260
	v_cmp_class_f32_e32 vcc, v1, v6
	s_nop 1
	v_cndmask_b32_e32 v1, v2, v1, vcc
	v_mul_f32_e32 v2, -0.5, v5
	v_mul_f32_e32 v2, v3, v2
	v_div_scale_f32 v3, s[0:1], v1, v1, v2
	v_rcp_f32_e32 v5, v3
	s_nop 0
	v_fma_f32 v6, -v3, v5, 1.0
	v_fmac_f32_e32 v5, v6, v5
	v_div_scale_f32 v6, vcc, v2, v1, v2
	v_mul_f32_e32 v7, v6, v5
	v_fma_f32 v8, -v3, v7, v6
	v_fmac_f32_e32 v7, v8, v5
	v_fma_f32 v3, -v3, v7, v6
	v_div_fmas_f32 v3, v3, v5, v7
	v_div_fixup_f32 v2, v3, v1, v2
.LBB17_143:
	s_or_b64 exec, exec, s[4:5]
.LBB17_144:
	s_or_b64 exec, exec, s[2:3]
	v_add_u32_e32 v4, 0x80, v4
	global_store_dword v0, v2, s[16:17]
	s_or_b64 exec, exec, s[48:49]
	v_cmp_gt_i32_e32 vcc, s55, v4
	s_and_saveexec_b64 s[48:49], vcc
	s_cbranch_execnz .LBB17_16
.LBB17_145:
	s_or_b64 exec, exec, s[48:49]
	v_cmp_gt_i32_e32 vcc, s55, v4
	s_and_saveexec_b64 s[48:49], vcc
	s_cbranch_execz .LBB17_174
.LBB17_146:
	s_andn2_b64 vcc, exec, s[36:37]
	s_cbranch_vccnz .LBB17_152
; %bb.147:
	s_andn2_b64 vcc, exec, s[46:47]
	s_cbranch_vccnz .LBB17_153
; %bb.148:
	s_add_i32 s58, s56, 1
	s_cmp_eq_u32 s54, 2
	s_cbranch_scc1 .LBB17_177
; %bb.149:
	s_and_b32 s57, s58, 28
	s_mov_b32 s59, 0
	v_mov_b32_e32 v0, 0
	v_mov_b32_e32 v2, 0
	s_mov_b64 s[50:51], s[34:35]
	s_mov_b64 s[52:53], s[44:45]
	v_mov_b32_e32 v5, v4
.LBB17_150:                             ; =>This Inner Loop Header: Depth=1
	s_load_dwordx8 s[8:15], s[50:51], 0x4
	s_load_dwordx4 s[28:31], s[50:51], 0x24
	s_load_dwordx8 s[0:7], s[52:53], 0x0
	s_add_u32 s50, s50, 48
	s_addc_u32 s51, s51, 0
	s_waitcnt lgkmcnt(0)
	v_mul_hi_u32 v1, s9, v5
	v_add_u32_e32 v1, v5, v1
	v_lshrrev_b32_e32 v1, s10, v1
	v_mul_lo_u32 v3, v1, s8
	v_mul_hi_u32 v6, s12, v1
	v_sub_u32_e32 v3, v5, v3
	v_add_u32_e32 v5, v1, v6
	v_lshrrev_b32_e32 v5, s13, v5
	v_mul_lo_u32 v7, v5, s11
	v_mul_hi_u32 v8, s15, v5
	v_sub_u32_e32 v1, v1, v7
	v_add_u32_e32 v7, v5, v8
	v_mul_lo_u32 v6, v3, s1
	v_mul_lo_u32 v3, v3, s0
	v_mul_lo_u32 v8, v1, s3
	v_mul_lo_u32 v1, v1, s2
	v_lshrrev_b32_e32 v7, s28, v7
	v_add3_u32 v0, v3, v0, v1
	v_mul_hi_u32 v3, s30, v7
	v_add3_u32 v1, v6, v2, v8
	v_mul_lo_u32 v2, v7, s14
	v_add_u32_e32 v3, v7, v3
	v_sub_u32_e32 v2, v5, v2
	v_lshrrev_b32_e32 v5, s31, v3
	s_add_i32 s59, s59, 4
	v_mul_lo_u32 v3, v5, s29
	s_add_u32 s52, s52, 32
	v_sub_u32_e32 v3, v7, v3
	s_addc_u32 s53, s53, 0
	v_mul_lo_u32 v6, v2, s4
	v_mul_lo_u32 v2, v2, s5
	;; [unrolled: 1-line block ×4, first 2 shown]
	s_cmp_eq_u32 s57, s59
	v_add3_u32 v2, v2, v1, v3
	v_add3_u32 v0, v6, v0, v7
	s_cbranch_scc0 .LBB17_150
; %bb.151:
	v_mov_b32_e32 v1, v2
	s_branch .LBB17_178
.LBB17_152:
                                        ; implicit-def: $vgpr2
                                        ; implicit-def: $vgpr0
	s_branch .LBB17_182
.LBB17_153:
	v_mov_b32_e32 v2, 0
	v_mov_b32_e32 v0, 0
	s_branch .LBB17_181
.LBB17_154:
	v_mov_b32_e32 v0, 0
	s_mov_b32 s57, 0
	v_mov_b32_e32 v1, v0
                                        ; implicit-def: $vgpr2
	v_mov_b32_e32 v5, v4
.LBB17_155:
	s_and_b32 s4, s58, 3
	s_cmp_eq_u32 s4, 0
	s_cbranch_scc1 .LBB17_158
; %bb.156:
	s_lshl_b32 s0, s57, 3
	s_add_u32 s0, s34, s0
	s_addc_u32 s1, s35, 0
	s_add_u32 s0, s0, 0xc4
	s_addc_u32 s1, s1, 0
	s_mul_i32 s2, s57, 12
	s_add_u32 s2, s34, s2
	s_addc_u32 s3, s35, 0
.LBB17_157:                             ; =>This Inner Loop Header: Depth=1
	s_load_dwordx2 s[6:7], s[2:3], 0x4
	s_load_dword s5, s[2:3], 0xc
	s_load_dwordx2 s[8:9], s[0:1], 0x0
	v_mov_b32_e32 v2, v1
	s_add_u32 s2, s2, 12
	s_waitcnt lgkmcnt(0)
	v_mul_hi_u32 v1, s7, v5
	v_add_u32_e32 v1, v5, v1
	v_lshrrev_b32_e32 v1, s5, v1
	s_addc_u32 s3, s3, 0
	v_mul_lo_u32 v3, v1, s6
	s_add_u32 s0, s0, 8
	v_sub_u32_e32 v6, v5, v3
	s_addc_u32 s1, s1, 0
	s_add_i32 s4, s4, -1
	v_mov_b32_e32 v5, v1
	v_mad_u64_u32 v[2:3], s[6:7], v6, s9, v[2:3]
	v_mad_u64_u32 v[0:1], s[6:7], v6, s8, v[0:1]
	s_cmp_lg_u32 s4, 0
	v_mov_b32_e32 v1, v2
	s_cbranch_scc1 .LBB17_157
.LBB17_158:
	s_cbranch_execnz .LBB17_161
.LBB17_159:
	s_waitcnt lgkmcnt(0)
	v_mul_hi_u32 v0, s25, v4
	v_add_u32_e32 v0, v4, v0
	v_lshrrev_b32_e32 v1, s26, v0
	v_mul_lo_u32 v0, v1, s24
	v_sub_u32_e32 v0, v4, v0
	v_mul_lo_u32 v2, v0, s21
	s_andn2_b64 vcc, exec, s[42:43]
	v_mul_lo_u32 v0, v0, s20
	s_cbranch_vccnz .LBB17_161
; %bb.160:
	v_mul_hi_u32 v3, s40, v1
	v_add_u32_e32 v3, v1, v3
	v_lshrrev_b32_e32 v3, s41, v3
	v_mul_lo_u32 v3, v3, s27
	v_sub_u32_e32 v3, v1, v3
	v_mad_u64_u32 v[0:1], s[0:1], v3, s22, v[0:1]
	v_mad_u64_u32 v[2:3], s[0:1], v3, s23, v[2:3]
.LBB17_161:
	s_waitcnt lgkmcnt(0)
	global_load_dword v1, v2, s[18:19]
	s_mov_b32 s0, 0x41000000
                                        ; implicit-def: $vgpr2
	s_waitcnt vmcnt(0)
	v_cmp_le_f32_e64 s[0:1], |v1|, s0
	s_and_saveexec_b64 s[2:3], s[0:1]
	s_xor_b64 s[2:3], exec, s[2:3]
	s_cbranch_execz .LBB17_167
; %bb.162:
	v_fma_f32 v2, |v1|, 0.5, -2.0
	v_mov_b32_e32 v3, 0xa3c2be86
	v_fmac_f32_e32 v3, 0x224cf950, v2
	v_fmaak_f32 v5, v2, v3, 0xa24cf950
	v_add_f32_e32 v5, 0x25331f1f, v5
	v_fma_f32 v3, v2, v5, -v3
	v_add_f32_e32 v3, 0xa69f5554, v3
	v_fma_f32 v5, v2, v3, -v5
	;; [unrolled: 2-line block ×25, first 2 shown]
	v_add_f32_e32 v3, 0xbe34a688, v3
	s_mov_b32 s0, 0x3fb8aa3b
	v_fma_f32 v2, v2, v3, -v5
	v_mul_f32_e64 v3, |v1|, s0
	v_rndne_f32_e32 v6, v3
	v_sub_f32_e32 v7, v3, v6
	v_fma_f32 v3, |v1|, s0, -v3
	s_mov_b32 s0, 0x32a5705f
	v_fma_f32 v3, |v1|, s0, v3
	v_add_f32_e32 v3, v7, v3
	v_exp_f32_e32 v7, v3
	v_cvt_i32_f32_e32 v6, v6
	v_add_f32_e32 v2, 0x3e81531c, v2
	v_sub_f32_e32 v2, v2, v5
	v_mul_f32_e32 v2, 0.5, v2
	s_mov_b32 s0, 0xc2ce8ed0
	v_mul_f32_e64 v3, |v1|, v2
	v_ldexp_f32 v2, v7, v6
	v_cmp_nlt_f32_e64 s[0:1], |v1|, s0
	v_mov_b32_e32 v5, 0x7f800000
	v_cmp_ngt_f32_e32 vcc, 0, v1
	v_cndmask_b32_e64 v2, 0, v2, s[0:1]
	s_mov_b32 s0, 0x42b17218
	v_cmp_ngt_f32_e64 s[0:1], |v1|, s0
	s_nop 1
	v_cndmask_b32_e64 v1, v5, v2, s[0:1]
                                        ; implicit-def: $vgpr2
	s_and_saveexec_b64 s[0:1], vcc
	s_xor_b64 s[0:1], exec, s[0:1]
; %bb.163:
	v_mul_f32_e32 v2, v1, v3
                                        ; implicit-def: $vgpr1
                                        ; implicit-def: $vgpr3
; %bb.164:
	s_andn2_saveexec_b64 s[0:1], s[0:1]
; %bb.165:
	v_mul_f32_e64 v2, v3, -v1
; %bb.166:
	s_or_b64 exec, exec, s[0:1]
                                        ; implicit-def: $vgpr1
.LBB17_167:
	s_andn2_saveexec_b64 s[2:3], s[2:3]
	s_cbranch_execz .LBB17_173
; %bb.168:
	v_and_b32_e32 v2, 0x7fffffff, v1
	s_mov_b32 s4, 0x42000000
	v_div_scale_f32 v3, s[0:1], v2, v2, s4
	v_rcp_f32_e32 v5, v3
	v_div_scale_f32 v2, vcc, s4, v2, s4
	s_mov_b32 s0, 0x3fb8aa3b
	v_fma_f32 v6, -v3, v5, 1.0
	v_fmac_f32_e32 v5, v6, v5
	v_mul_f32_e32 v6, v2, v5
	v_fma_f32 v7, -v3, v6, v2
	v_fmac_f32_e32 v6, v7, v5
	v_fma_f32 v2, -v3, v6, v2
	v_div_fmas_f32 v2, v2, v5, v6
	v_div_fixup_f32 v2, v2, |v1|, s4
	v_add_f32_e32 v2, -2.0, v2
	v_mov_b32_e32 v3, 0x22a2dc57
	v_fmac_f32_e32 v3, 0x230aab6e, v2
	v_fmaak_f32 v5, v2, v3, 0xa30aab6e
	v_add_f32_e32 v5, 0xa456751e, v5
	v_fma_f32 v3, v2, v5, -v3
	v_add_f32_e32 v3, 0xa4140365, v3
	v_fma_f32 v5, v2, v3, -v5
	v_add_f32_e32 v5, 0x25aac8b0, v5
	v_fma_f32 v3, v2, v5, -v3
	v_add_f32_e32 v3, 0x25beb473, v3
	v_fma_f32 v5, v2, v3, -v5
	v_add_f32_e32 v5, 0xa7077e6c, v5
	v_fma_f32 v3, v2, v5, -v3
	v_add_f32_e32 v3, 0xa7896da9, v3
	v_fma_f32 v5, v2, v3, -v5
	v_add_f32_e32 v5, 0x283bb70c, v5
	v_fma_f32 v3, v2, v5, -v3
	v_add_f32_e32 v3, 0x294069e1, v3
	v_fma_f32 v5, v2, v3, -v5
	v_add_f32_e32 v5, 0xa8bd4a41, v5
	v_fma_f32 v3, v2, v5, -v3
	v_add_f32_e32 v3, 0xaae5e22c, v3
	v_fma_f32 v5, v2, v3, -v5
	v_add_f32_e32 v5, 0xab4a9f08, v5
	v_fma_f32 v3, v2, v5, -v3
	v_add_f32_e32 v3, 0x2c0f3ea0, v3
	v_fma_f32 v5, v2, v3, -v5
	v_add_f32_e32 v5, 0x2d7880fb, v5
	v_fma_f32 v3, v2, v5, -v3
	v_add_f32_e32 v3, 0x2e0f0d10, v3
	v_fma_f32 v5, v2, v3, -v5
	v_add_f32_e32 v5, 0xada6e7cf, v5
	v_fma_f32 v3, v2, v5, -v3
	v_add_f32_e32 v3, 0xb019a653, v3
	v_fma_f32 v5, v2, v3, -v5
	v_add_f32_e32 v5, 0xb183c85d, v5
	v_fma_f32 v3, v2, v5, -v3
	v_add_f32_e32 v3, 0xb2e20a9d, v3
	v_mul_f32_e64 v6, |v1|, s0
	v_fma_f32 v5, v2, v3, -v5
	v_rndne_f32_e32 v7, v6
	v_add_f32_e32 v5, 0xb486dfe9, v5
	v_sub_f32_e32 v8, v6, v7
	v_fma_f32 v6, |v1|, s0, -v6
	s_mov_b32 s0, 0x32a5705f
	v_fma_f32 v3, v2, v5, -v3
	v_fma_f32 v6, |v1|, s0, v6
	v_add_f32_e32 v3, 0xb68246fa, v3
	v_add_f32_e32 v6, v8, v6
	v_fma_f32 v5, v2, v3, -v5
	v_exp_f32_e32 v6, v6
	v_cvt_i32_f32_e32 v7, v7
	v_add_f32_e32 v5, 0xb8e7ebfc, v5
	v_fma_f32 v3, v2, v5, -v3
	v_add_f32_e32 v3, 0xbc1fed03, v3
	s_mov_b32 s0, 0xc2ce8ed0
	v_fma_f32 v2, v2, v3, -v5
	v_ldexp_f32 v3, v6, v7
	v_cmp_nlt_f32_e64 s[0:1], |v1|, s0
	v_add_f32_e32 v2, 0x3f4750c6, v2
	v_mov_b32_e32 v6, 0x7f800000
	v_cndmask_b32_e64 v3, 0, v3, s[0:1]
	s_mov_b32 s0, 0x42b17218
	v_cmp_ngt_f32_e64 s[0:1], |v1|, s0
	v_cmp_ngt_f32_e32 vcc, 0, v1
	v_sub_f32_e32 v5, v2, v5
	v_cndmask_b32_e64 v3, v6, v3, s[0:1]
                                        ; implicit-def: $vgpr2
	s_and_saveexec_b64 s[0:1], vcc
	s_xor_b64 s[4:5], exec, s[0:1]
	s_cbranch_execz .LBB17_170
; %bb.169:
	s_mov_b32 s0, 0xf800000
	s_mov_b32 s1, 0x4f800000
	v_mul_f32_e64 v2, |v1|, s1
	v_cmp_lt_f32_e64 vcc, |v1|, s0
	v_mul_f32_e32 v5, 0.5, v5
	v_mul_f32_e32 v3, v3, v5
	v_cndmask_b32_e64 v1, |v1|, v2, vcc
	v_sqrt_f32_e32 v2, v1
	s_nop 0
	v_add_u32_e32 v5, -1, v2
	v_fma_f32 v6, -v5, v2, v1
	v_cmp_ge_f32_e64 s[0:1], 0, v6
	v_add_u32_e32 v6, 1, v2
	s_nop 0
	v_cndmask_b32_e64 v5, v2, v5, s[0:1]
	v_fma_f32 v2, -v6, v2, v1
	v_cmp_lt_f32_e64 s[0:1], 0, v2
	s_nop 1
	v_cndmask_b32_e64 v2, v5, v6, s[0:1]
	v_mul_f32_e32 v5, 0x37800000, v2
	v_cndmask_b32_e32 v2, v2, v5, vcc
	v_mov_b32_e32 v5, 0x260
	v_cmp_class_f32_e32 vcc, v1, v5
	s_nop 1
	v_cndmask_b32_e32 v1, v2, v1, vcc
	v_div_scale_f32 v2, s[0:1], v1, v1, v3
	v_rcp_f32_e32 v5, v2
	s_nop 0
	v_fma_f32 v6, -v2, v5, 1.0
	v_fmac_f32_e32 v5, v6, v5
	v_div_scale_f32 v6, vcc, v3, v1, v3
	v_mul_f32_e32 v7, v6, v5
	v_fma_f32 v8, -v2, v7, v6
	v_fmac_f32_e32 v7, v8, v5
	v_fma_f32 v2, -v2, v7, v6
	v_div_fmas_f32 v2, v2, v5, v7
	v_div_fixup_f32 v2, v2, v1, v3
                                        ; implicit-def: $vgpr1
                                        ; implicit-def: $vgpr5
                                        ; implicit-def: $vgpr3
.LBB17_170:
	s_andn2_saveexec_b64 s[4:5], s[4:5]
	s_cbranch_execz .LBB17_172
; %bb.171:
	s_mov_b32 s0, 0xf800000
	s_mov_b32 s1, 0x4f800000
	v_mul_f32_e64 v2, |v1|, s1
	v_cmp_lt_f32_e64 vcc, |v1|, s0
	s_nop 1
	v_cndmask_b32_e64 v1, |v1|, v2, vcc
	v_sqrt_f32_e32 v2, v1
	s_nop 0
	v_add_u32_e32 v6, -1, v2
	v_fma_f32 v7, -v6, v2, v1
	v_cmp_ge_f32_e64 s[0:1], 0, v7
	v_add_u32_e32 v7, 1, v2
	s_nop 0
	v_cndmask_b32_e64 v6, v2, v6, s[0:1]
	v_fma_f32 v2, -v7, v2, v1
	v_cmp_lt_f32_e64 s[0:1], 0, v2
	s_nop 1
	v_cndmask_b32_e64 v2, v6, v7, s[0:1]
	v_mul_f32_e32 v6, 0x37800000, v2
	v_cndmask_b32_e32 v2, v2, v6, vcc
	v_mov_b32_e32 v6, 0x260
	v_cmp_class_f32_e32 vcc, v1, v6
	s_nop 1
	v_cndmask_b32_e32 v1, v2, v1, vcc
	v_mul_f32_e32 v2, -0.5, v5
	v_mul_f32_e32 v2, v3, v2
	v_div_scale_f32 v3, s[0:1], v1, v1, v2
	v_rcp_f32_e32 v5, v3
	s_nop 0
	v_fma_f32 v6, -v3, v5, 1.0
	v_fmac_f32_e32 v5, v6, v5
	v_div_scale_f32 v6, vcc, v2, v1, v2
	v_mul_f32_e32 v7, v6, v5
	v_fma_f32 v8, -v3, v7, v6
	v_fmac_f32_e32 v7, v8, v5
	v_fma_f32 v3, -v3, v7, v6
	v_div_fmas_f32 v3, v3, v5, v7
	v_div_fixup_f32 v2, v3, v1, v2
.LBB17_172:
	s_or_b64 exec, exec, s[4:5]
.LBB17_173:
	s_or_b64 exec, exec, s[2:3]
	v_add_u32_e32 v4, 0x80, v4
	global_store_dword v0, v2, s[16:17]
	s_or_b64 exec, exec, s[48:49]
	v_cmp_gt_i32_e32 vcc, s55, v4
	s_and_saveexec_b64 s[48:49], vcc
	s_cbranch_execnz .LBB17_146
.LBB17_174:
	s_or_b64 exec, exec, s[48:49]
	v_cmp_gt_i32_e32 vcc, s55, v4
	s_and_saveexec_b64 s[48:49], vcc
	s_cbranch_execnz .LBB17_197
.LBB17_175:
	s_or_b64 exec, exec, s[48:49]
                                        ; implicit-def: $vgpr16
                                        ; implicit-def: $vgpr4
	s_andn2_saveexec_b64 s[0:1], s[38:39]
	s_cbranch_execnz .LBB17_9
.LBB17_176:
	s_endpgm
.LBB17_177:
	v_mov_b32_e32 v0, 0
	s_mov_b32 s57, 0
	v_mov_b32_e32 v1, v0
                                        ; implicit-def: $vgpr2
	v_mov_b32_e32 v5, v4
.LBB17_178:
	s_and_b32 s4, s58, 3
	s_cmp_eq_u32 s4, 0
	s_cbranch_scc1 .LBB17_181
; %bb.179:
	s_lshl_b32 s0, s57, 3
	s_add_u32 s0, s34, s0
	s_addc_u32 s1, s35, 0
	s_add_u32 s0, s0, 0xc4
	s_addc_u32 s1, s1, 0
	s_mul_i32 s2, s57, 12
	s_add_u32 s2, s34, s2
	s_addc_u32 s3, s35, 0
.LBB17_180:                             ; =>This Inner Loop Header: Depth=1
	s_load_dwordx2 s[6:7], s[2:3], 0x4
	s_load_dword s5, s[2:3], 0xc
	s_load_dwordx2 s[8:9], s[0:1], 0x0
	v_mov_b32_e32 v2, v1
	s_add_u32 s2, s2, 12
	s_waitcnt lgkmcnt(0)
	v_mul_hi_u32 v1, s7, v5
	v_add_u32_e32 v1, v5, v1
	v_lshrrev_b32_e32 v1, s5, v1
	s_addc_u32 s3, s3, 0
	v_mul_lo_u32 v3, v1, s6
	s_add_u32 s0, s0, 8
	v_sub_u32_e32 v6, v5, v3
	s_addc_u32 s1, s1, 0
	s_add_i32 s4, s4, -1
	v_mov_b32_e32 v5, v1
	v_mad_u64_u32 v[2:3], s[6:7], v6, s9, v[2:3]
	v_mad_u64_u32 v[0:1], s[6:7], v6, s8, v[0:1]
	s_cmp_lg_u32 s4, 0
	v_mov_b32_e32 v1, v2
	s_cbranch_scc1 .LBB17_180
.LBB17_181:
	s_cbranch_execnz .LBB17_184
.LBB17_182:
	s_waitcnt lgkmcnt(0)
	v_mul_hi_u32 v0, s25, v4
	v_add_u32_e32 v0, v4, v0
	v_lshrrev_b32_e32 v1, s26, v0
	v_mul_lo_u32 v0, v1, s24
	v_sub_u32_e32 v0, v4, v0
	v_mul_lo_u32 v2, v0, s21
	s_andn2_b64 vcc, exec, s[42:43]
	v_mul_lo_u32 v0, v0, s20
	s_cbranch_vccnz .LBB17_184
; %bb.183:
	v_mul_hi_u32 v3, s40, v1
	v_add_u32_e32 v3, v1, v3
	v_lshrrev_b32_e32 v3, s41, v3
	v_mul_lo_u32 v3, v3, s27
	v_sub_u32_e32 v3, v1, v3
	v_mad_u64_u32 v[0:1], s[0:1], v3, s22, v[0:1]
	v_mad_u64_u32 v[2:3], s[0:1], v3, s23, v[2:3]
.LBB17_184:
	s_waitcnt lgkmcnt(0)
	global_load_dword v1, v2, s[18:19]
	s_mov_b32 s0, 0x41000000
                                        ; implicit-def: $vgpr2
	s_waitcnt vmcnt(0)
	v_cmp_le_f32_e64 s[0:1], |v1|, s0
	s_and_saveexec_b64 s[2:3], s[0:1]
	s_xor_b64 s[2:3], exec, s[2:3]
	s_cbranch_execz .LBB17_190
; %bb.185:
	v_fma_f32 v2, |v1|, 0.5, -2.0
	v_mov_b32_e32 v3, 0xa3c2be86
	v_fmac_f32_e32 v3, 0x224cf950, v2
	v_fmaak_f32 v5, v2, v3, 0xa24cf950
	v_add_f32_e32 v5, 0x25331f1f, v5
	v_fma_f32 v3, v2, v5, -v3
	v_add_f32_e32 v3, 0xa69f5554, v3
	v_fma_f32 v5, v2, v3, -v5
	;; [unrolled: 2-line block ×25, first 2 shown]
	v_add_f32_e32 v3, 0xbe34a688, v3
	s_mov_b32 s0, 0x3fb8aa3b
	v_fma_f32 v2, v2, v3, -v5
	v_mul_f32_e64 v3, |v1|, s0
	v_rndne_f32_e32 v6, v3
	v_sub_f32_e32 v7, v3, v6
	v_fma_f32 v3, |v1|, s0, -v3
	s_mov_b32 s0, 0x32a5705f
	v_fma_f32 v3, |v1|, s0, v3
	v_add_f32_e32 v3, v7, v3
	v_exp_f32_e32 v7, v3
	v_cvt_i32_f32_e32 v6, v6
	v_add_f32_e32 v2, 0x3e81531c, v2
	v_sub_f32_e32 v2, v2, v5
	v_mul_f32_e32 v2, 0.5, v2
	s_mov_b32 s0, 0xc2ce8ed0
	v_mul_f32_e64 v3, |v1|, v2
	v_ldexp_f32 v2, v7, v6
	v_cmp_nlt_f32_e64 s[0:1], |v1|, s0
	v_mov_b32_e32 v5, 0x7f800000
	v_cmp_ngt_f32_e32 vcc, 0, v1
	v_cndmask_b32_e64 v2, 0, v2, s[0:1]
	s_mov_b32 s0, 0x42b17218
	v_cmp_ngt_f32_e64 s[0:1], |v1|, s0
	s_nop 1
	v_cndmask_b32_e64 v1, v5, v2, s[0:1]
                                        ; implicit-def: $vgpr2
	s_and_saveexec_b64 s[0:1], vcc
	s_xor_b64 s[0:1], exec, s[0:1]
; %bb.186:
	v_mul_f32_e32 v2, v1, v3
                                        ; implicit-def: $vgpr1
                                        ; implicit-def: $vgpr3
; %bb.187:
	s_andn2_saveexec_b64 s[0:1], s[0:1]
; %bb.188:
	v_mul_f32_e64 v2, v3, -v1
; %bb.189:
	s_or_b64 exec, exec, s[0:1]
                                        ; implicit-def: $vgpr1
.LBB17_190:
	s_andn2_saveexec_b64 s[2:3], s[2:3]
	s_cbranch_execz .LBB17_196
; %bb.191:
	v_and_b32_e32 v2, 0x7fffffff, v1
	s_mov_b32 s4, 0x42000000
	v_div_scale_f32 v3, s[0:1], v2, v2, s4
	v_rcp_f32_e32 v5, v3
	v_div_scale_f32 v2, vcc, s4, v2, s4
	s_mov_b32 s0, 0x3fb8aa3b
	v_fma_f32 v6, -v3, v5, 1.0
	v_fmac_f32_e32 v5, v6, v5
	v_mul_f32_e32 v6, v2, v5
	v_fma_f32 v7, -v3, v6, v2
	v_fmac_f32_e32 v6, v7, v5
	v_fma_f32 v2, -v3, v6, v2
	v_div_fmas_f32 v2, v2, v5, v6
	v_div_fixup_f32 v2, v2, |v1|, s4
	v_add_f32_e32 v2, -2.0, v2
	v_mov_b32_e32 v3, 0x22a2dc57
	v_fmac_f32_e32 v3, 0x230aab6e, v2
	v_fmaak_f32 v5, v2, v3, 0xa30aab6e
	v_add_f32_e32 v5, 0xa456751e, v5
	v_fma_f32 v3, v2, v5, -v3
	v_add_f32_e32 v3, 0xa4140365, v3
	v_fma_f32 v5, v2, v3, -v5
	;; [unrolled: 2-line block ×17, first 2 shown]
	v_add_f32_e32 v3, 0xb2e20a9d, v3
	v_mul_f32_e64 v6, |v1|, s0
	v_fma_f32 v5, v2, v3, -v5
	v_rndne_f32_e32 v7, v6
	v_add_f32_e32 v5, 0xb486dfe9, v5
	v_sub_f32_e32 v8, v6, v7
	v_fma_f32 v6, |v1|, s0, -v6
	s_mov_b32 s0, 0x32a5705f
	v_fma_f32 v3, v2, v5, -v3
	v_fma_f32 v6, |v1|, s0, v6
	v_add_f32_e32 v3, 0xb68246fa, v3
	v_add_f32_e32 v6, v8, v6
	v_fma_f32 v5, v2, v3, -v5
	v_exp_f32_e32 v6, v6
	v_cvt_i32_f32_e32 v7, v7
	v_add_f32_e32 v5, 0xb8e7ebfc, v5
	v_fma_f32 v3, v2, v5, -v3
	v_add_f32_e32 v3, 0xbc1fed03, v3
	s_mov_b32 s0, 0xc2ce8ed0
	v_fma_f32 v2, v2, v3, -v5
	v_ldexp_f32 v3, v6, v7
	v_cmp_nlt_f32_e64 s[0:1], |v1|, s0
	v_add_f32_e32 v2, 0x3f4750c6, v2
	v_mov_b32_e32 v6, 0x7f800000
	v_cndmask_b32_e64 v3, 0, v3, s[0:1]
	s_mov_b32 s0, 0x42b17218
	v_cmp_ngt_f32_e64 s[0:1], |v1|, s0
	v_cmp_ngt_f32_e32 vcc, 0, v1
	v_sub_f32_e32 v5, v2, v5
	v_cndmask_b32_e64 v3, v6, v3, s[0:1]
                                        ; implicit-def: $vgpr2
	s_and_saveexec_b64 s[0:1], vcc
	s_xor_b64 s[4:5], exec, s[0:1]
	s_cbranch_execz .LBB17_193
; %bb.192:
	s_mov_b32 s0, 0xf800000
	s_mov_b32 s1, 0x4f800000
	v_mul_f32_e64 v2, |v1|, s1
	v_cmp_lt_f32_e64 vcc, |v1|, s0
	v_mul_f32_e32 v5, 0.5, v5
	v_mul_f32_e32 v3, v3, v5
	v_cndmask_b32_e64 v1, |v1|, v2, vcc
	v_sqrt_f32_e32 v2, v1
	s_nop 0
	v_add_u32_e32 v5, -1, v2
	v_fma_f32 v6, -v5, v2, v1
	v_cmp_ge_f32_e64 s[0:1], 0, v6
	v_add_u32_e32 v6, 1, v2
	s_nop 0
	v_cndmask_b32_e64 v5, v2, v5, s[0:1]
	v_fma_f32 v2, -v6, v2, v1
	v_cmp_lt_f32_e64 s[0:1], 0, v2
	s_nop 1
	v_cndmask_b32_e64 v2, v5, v6, s[0:1]
	v_mul_f32_e32 v5, 0x37800000, v2
	v_cndmask_b32_e32 v2, v2, v5, vcc
	v_mov_b32_e32 v5, 0x260
	v_cmp_class_f32_e32 vcc, v1, v5
	s_nop 1
	v_cndmask_b32_e32 v1, v2, v1, vcc
	v_div_scale_f32 v2, s[0:1], v1, v1, v3
	v_rcp_f32_e32 v5, v2
	s_nop 0
	v_fma_f32 v6, -v2, v5, 1.0
	v_fmac_f32_e32 v5, v6, v5
	v_div_scale_f32 v6, vcc, v3, v1, v3
	v_mul_f32_e32 v7, v6, v5
	v_fma_f32 v8, -v2, v7, v6
	v_fmac_f32_e32 v7, v8, v5
	v_fma_f32 v2, -v2, v7, v6
	v_div_fmas_f32 v2, v2, v5, v7
	v_div_fixup_f32 v2, v2, v1, v3
                                        ; implicit-def: $vgpr1
                                        ; implicit-def: $vgpr5
                                        ; implicit-def: $vgpr3
.LBB17_193:
	s_andn2_saveexec_b64 s[4:5], s[4:5]
	s_cbranch_execz .LBB17_195
; %bb.194:
	s_mov_b32 s0, 0xf800000
	s_mov_b32 s1, 0x4f800000
	v_mul_f32_e64 v2, |v1|, s1
	v_cmp_lt_f32_e64 vcc, |v1|, s0
	s_nop 1
	v_cndmask_b32_e64 v1, |v1|, v2, vcc
	v_sqrt_f32_e32 v2, v1
	s_nop 0
	v_add_u32_e32 v6, -1, v2
	v_fma_f32 v7, -v6, v2, v1
	v_cmp_ge_f32_e64 s[0:1], 0, v7
	v_add_u32_e32 v7, 1, v2
	s_nop 0
	v_cndmask_b32_e64 v6, v2, v6, s[0:1]
	v_fma_f32 v2, -v7, v2, v1
	v_cmp_lt_f32_e64 s[0:1], 0, v2
	s_nop 1
	v_cndmask_b32_e64 v2, v6, v7, s[0:1]
	v_mul_f32_e32 v6, 0x37800000, v2
	v_cndmask_b32_e32 v2, v2, v6, vcc
	v_mov_b32_e32 v6, 0x260
	v_cmp_class_f32_e32 vcc, v1, v6
	s_nop 1
	v_cndmask_b32_e32 v1, v2, v1, vcc
	v_mul_f32_e32 v2, -0.5, v5
	v_mul_f32_e32 v2, v3, v2
	v_div_scale_f32 v3, s[0:1], v1, v1, v2
	v_rcp_f32_e32 v5, v3
	s_nop 0
	v_fma_f32 v6, -v3, v5, 1.0
	v_fmac_f32_e32 v5, v6, v5
	v_div_scale_f32 v6, vcc, v2, v1, v2
	v_mul_f32_e32 v7, v6, v5
	v_fma_f32 v8, -v3, v7, v6
	v_fmac_f32_e32 v7, v8, v5
	v_fma_f32 v3, -v3, v7, v6
	v_div_fmas_f32 v3, v3, v5, v7
	v_div_fixup_f32 v2, v3, v1, v2
.LBB17_195:
	s_or_b64 exec, exec, s[4:5]
.LBB17_196:
	s_or_b64 exec, exec, s[2:3]
	v_add_u32_e32 v4, 0x80, v4
	global_store_dword v0, v2, s[16:17]
	s_or_b64 exec, exec, s[48:49]
	v_cmp_gt_i32_e32 vcc, s55, v4
	s_and_saveexec_b64 s[48:49], vcc
	s_cbranch_execz .LBB17_175
.LBB17_197:
	s_andn2_b64 vcc, exec, s[36:37]
	s_cbranch_vccnz .LBB17_203
; %bb.198:
	s_andn2_b64 vcc, exec, s[46:47]
	s_cbranch_vccnz .LBB17_204
; %bb.199:
	s_add_i32 s56, s56, 1
	s_cmp_eq_u32 s54, 2
	s_cbranch_scc1 .LBB17_205
; %bb.200:
	s_and_b32 s50, s56, 28
	s_mov_b32 s51, 0
	v_mov_b32_e32 v0, 0
	v_mov_b32_e32 v2, 0
	s_mov_b64 s[46:47], s[34:35]
	v_mov_b32_e32 v5, v4
.LBB17_201:                             ; =>This Inner Loop Header: Depth=1
	s_load_dwordx8 s[8:15], s[46:47], 0x4
	s_load_dwordx4 s[28:31], s[46:47], 0x24
	s_load_dwordx8 s[0:7], s[44:45], 0x0
	s_add_u32 s46, s46, 48
	s_addc_u32 s47, s47, 0
	s_waitcnt lgkmcnt(0)
	v_mul_hi_u32 v1, s9, v5
	v_add_u32_e32 v1, v5, v1
	v_lshrrev_b32_e32 v1, s10, v1
	v_mul_lo_u32 v3, v1, s8
	v_mul_hi_u32 v6, s12, v1
	v_sub_u32_e32 v3, v5, v3
	v_add_u32_e32 v5, v1, v6
	v_lshrrev_b32_e32 v5, s13, v5
	v_mul_lo_u32 v7, v5, s11
	v_mul_hi_u32 v8, s15, v5
	v_sub_u32_e32 v1, v1, v7
	v_add_u32_e32 v7, v5, v8
	v_mul_lo_u32 v6, v3, s1
	v_mul_lo_u32 v3, v3, s0
	;; [unrolled: 1-line block ×4, first 2 shown]
	v_lshrrev_b32_e32 v7, s28, v7
	v_add3_u32 v0, v3, v0, v1
	v_mul_hi_u32 v3, s30, v7
	v_add3_u32 v1, v6, v2, v8
	v_mul_lo_u32 v2, v7, s14
	v_add_u32_e32 v3, v7, v3
	v_sub_u32_e32 v2, v5, v2
	v_lshrrev_b32_e32 v5, s31, v3
	s_add_i32 s51, s51, 4
	v_mul_lo_u32 v3, v5, s29
	s_add_u32 s44, s44, 32
	v_sub_u32_e32 v3, v7, v3
	s_addc_u32 s45, s45, 0
	v_mul_lo_u32 v6, v2, s4
	v_mul_lo_u32 v2, v2, s5
	;; [unrolled: 1-line block ×4, first 2 shown]
	s_cmp_eq_u32 s50, s51
	v_add3_u32 v2, v2, v1, v3
	v_add3_u32 v0, v6, v0, v7
	s_cbranch_scc0 .LBB17_201
; %bb.202:
	v_mov_b32_e32 v1, v2
	s_branch .LBB17_206
.LBB17_203:
                                        ; implicit-def: $vgpr2
                                        ; implicit-def: $vgpr0
	s_branch .LBB17_210
.LBB17_204:
	v_mov_b32_e32 v2, 0
	v_mov_b32_e32 v0, 0
	s_branch .LBB17_209
.LBB17_205:
	v_mov_b32_e32 v0, 0
	s_mov_b32 s50, 0
	v_mov_b32_e32 v1, v0
                                        ; implicit-def: $vgpr2
	v_mov_b32_e32 v5, v4
.LBB17_206:
	s_and_b32 s4, s56, 3
	s_cmp_eq_u32 s4, 0
	s_cbranch_scc1 .LBB17_209
; %bb.207:
	s_lshl_b32 s0, s50, 3
	s_add_u32 s0, s34, s0
	s_addc_u32 s1, s35, 0
	s_add_u32 s0, s0, 0xc4
	s_addc_u32 s1, s1, 0
	s_mul_i32 s2, s50, 12
	s_add_u32 s2, s34, s2
	s_addc_u32 s3, s35, 0
.LBB17_208:                             ; =>This Inner Loop Header: Depth=1
	s_load_dwordx2 s[6:7], s[2:3], 0x4
	s_load_dword s5, s[2:3], 0xc
	s_load_dwordx2 s[8:9], s[0:1], 0x0
	v_mov_b32_e32 v2, v1
	s_add_u32 s2, s2, 12
	s_waitcnt lgkmcnt(0)
	v_mul_hi_u32 v1, s7, v5
	v_add_u32_e32 v1, v5, v1
	v_lshrrev_b32_e32 v1, s5, v1
	s_addc_u32 s3, s3, 0
	v_mul_lo_u32 v3, v1, s6
	s_add_u32 s0, s0, 8
	v_sub_u32_e32 v6, v5, v3
	s_addc_u32 s1, s1, 0
	s_add_i32 s4, s4, -1
	v_mov_b32_e32 v5, v1
	v_mad_u64_u32 v[2:3], s[6:7], v6, s9, v[2:3]
	v_mad_u64_u32 v[0:1], s[6:7], v6, s8, v[0:1]
	s_cmp_lg_u32 s4, 0
	v_mov_b32_e32 v1, v2
	s_cbranch_scc1 .LBB17_208
.LBB17_209:
	s_cbranch_execnz .LBB17_212
.LBB17_210:
	s_waitcnt lgkmcnt(0)
	v_mul_hi_u32 v0, s25, v4
	v_add_u32_e32 v0, v4, v0
	v_lshrrev_b32_e32 v1, s26, v0
	v_mul_lo_u32 v0, v1, s24
	v_sub_u32_e32 v0, v4, v0
	v_mul_lo_u32 v2, v0, s21
	s_andn2_b64 vcc, exec, s[42:43]
	v_mul_lo_u32 v0, v0, s20
	s_cbranch_vccnz .LBB17_212
; %bb.211:
	v_mul_hi_u32 v3, s40, v1
	v_add_u32_e32 v3, v1, v3
	v_lshrrev_b32_e32 v3, s41, v3
	v_mul_lo_u32 v3, v3, s27
	v_sub_u32_e32 v3, v1, v3
	v_mad_u64_u32 v[0:1], s[0:1], v3, s22, v[0:1]
	v_mad_u64_u32 v[2:3], s[0:1], v3, s23, v[2:3]
.LBB17_212:
	s_waitcnt lgkmcnt(0)
	global_load_dword v1, v2, s[18:19]
	s_mov_b32 s0, 0x41000000
                                        ; implicit-def: $vgpr2
	s_waitcnt vmcnt(0)
	v_cmp_le_f32_e64 s[0:1], |v1|, s0
	s_and_saveexec_b64 s[2:3], s[0:1]
	s_xor_b64 s[2:3], exec, s[2:3]
	s_cbranch_execz .LBB17_218
; %bb.213:
	v_fma_f32 v2, |v1|, 0.5, -2.0
	v_mov_b32_e32 v3, 0xa3c2be86
	v_fmac_f32_e32 v3, 0x224cf950, v2
	v_fmaak_f32 v4, v2, v3, 0xa24cf950
	v_add_f32_e32 v4, 0x25331f1f, v4
	v_fma_f32 v3, v2, v4, -v3
	v_add_f32_e32 v3, 0xa69f5554, v3
	v_fma_f32 v4, v2, v3, -v4
	;; [unrolled: 2-line block ×25, first 2 shown]
	v_add_f32_e32 v3, 0xbe34a688, v3
	s_mov_b32 s0, 0x3fb8aa3b
	v_fma_f32 v2, v2, v3, -v4
	v_mul_f32_e64 v3, |v1|, s0
	v_rndne_f32_e32 v5, v3
	v_sub_f32_e32 v6, v3, v5
	v_fma_f32 v3, |v1|, s0, -v3
	s_mov_b32 s0, 0x32a5705f
	v_fma_f32 v3, |v1|, s0, v3
	v_add_f32_e32 v3, v6, v3
	v_exp_f32_e32 v6, v3
	v_cvt_i32_f32_e32 v5, v5
	v_add_f32_e32 v2, 0x3e81531c, v2
	v_sub_f32_e32 v2, v2, v4
	v_mul_f32_e32 v2, 0.5, v2
	s_mov_b32 s0, 0xc2ce8ed0
	v_mul_f32_e64 v3, |v1|, v2
	v_ldexp_f32 v2, v6, v5
	v_cmp_nlt_f32_e64 s[0:1], |v1|, s0
	v_mov_b32_e32 v4, 0x7f800000
	v_cmp_ngt_f32_e32 vcc, 0, v1
	v_cndmask_b32_e64 v2, 0, v2, s[0:1]
	s_mov_b32 s0, 0x42b17218
	v_cmp_ngt_f32_e64 s[0:1], |v1|, s0
	s_nop 1
	v_cndmask_b32_e64 v1, v4, v2, s[0:1]
                                        ; implicit-def: $vgpr2
	s_and_saveexec_b64 s[0:1], vcc
	s_xor_b64 s[0:1], exec, s[0:1]
; %bb.214:
	v_mul_f32_e32 v2, v1, v3
                                        ; implicit-def: $vgpr1
                                        ; implicit-def: $vgpr3
; %bb.215:
	s_andn2_saveexec_b64 s[0:1], s[0:1]
; %bb.216:
	v_mul_f32_e64 v2, v3, -v1
; %bb.217:
	s_or_b64 exec, exec, s[0:1]
                                        ; implicit-def: $vgpr1
.LBB17_218:
	s_andn2_saveexec_b64 s[2:3], s[2:3]
	s_cbranch_execz .LBB17_224
; %bb.219:
	v_and_b32_e32 v2, 0x7fffffff, v1
	s_mov_b32 s4, 0x42000000
	v_div_scale_f32 v3, s[0:1], v2, v2, s4
	v_rcp_f32_e32 v4, v3
	v_div_scale_f32 v2, vcc, s4, v2, s4
	s_mov_b32 s0, 0x3fb8aa3b
	v_fma_f32 v5, -v3, v4, 1.0
	v_fmac_f32_e32 v4, v5, v4
	v_mul_f32_e32 v5, v2, v4
	v_fma_f32 v6, -v3, v5, v2
	v_fmac_f32_e32 v5, v6, v4
	v_fma_f32 v2, -v3, v5, v2
	v_div_fmas_f32 v2, v2, v4, v5
	v_div_fixup_f32 v2, v2, |v1|, s4
	v_add_f32_e32 v2, -2.0, v2
	v_mov_b32_e32 v3, 0x22a2dc57
	v_fmac_f32_e32 v3, 0x230aab6e, v2
	v_fmaak_f32 v4, v2, v3, 0xa30aab6e
	v_add_f32_e32 v4, 0xa456751e, v4
	v_fma_f32 v3, v2, v4, -v3
	v_add_f32_e32 v3, 0xa4140365, v3
	v_fma_f32 v4, v2, v3, -v4
	;; [unrolled: 2-line block ×17, first 2 shown]
	v_add_f32_e32 v3, 0xb2e20a9d, v3
	v_mul_f32_e64 v5, |v1|, s0
	v_fma_f32 v4, v2, v3, -v4
	v_rndne_f32_e32 v6, v5
	v_add_f32_e32 v4, 0xb486dfe9, v4
	v_sub_f32_e32 v7, v5, v6
	v_fma_f32 v5, |v1|, s0, -v5
	s_mov_b32 s0, 0x32a5705f
	v_fma_f32 v3, v2, v4, -v3
	v_fma_f32 v5, |v1|, s0, v5
	v_add_f32_e32 v3, 0xb68246fa, v3
	v_add_f32_e32 v5, v7, v5
	v_fma_f32 v4, v2, v3, -v4
	v_exp_f32_e32 v5, v5
	v_cvt_i32_f32_e32 v6, v6
	v_add_f32_e32 v4, 0xb8e7ebfc, v4
	v_fma_f32 v3, v2, v4, -v3
	v_add_f32_e32 v3, 0xbc1fed03, v3
	s_mov_b32 s0, 0xc2ce8ed0
	v_fma_f32 v2, v2, v3, -v4
	v_ldexp_f32 v3, v5, v6
	v_cmp_nlt_f32_e64 s[0:1], |v1|, s0
	v_add_f32_e32 v2, 0x3f4750c6, v2
	v_mov_b32_e32 v5, 0x7f800000
	v_cndmask_b32_e64 v3, 0, v3, s[0:1]
	s_mov_b32 s0, 0x42b17218
	v_cmp_ngt_f32_e64 s[0:1], |v1|, s0
	v_cmp_ngt_f32_e32 vcc, 0, v1
	v_sub_f32_e32 v4, v2, v4
	v_cndmask_b32_e64 v3, v5, v3, s[0:1]
                                        ; implicit-def: $vgpr2
	s_and_saveexec_b64 s[0:1], vcc
	s_xor_b64 s[4:5], exec, s[0:1]
	s_cbranch_execz .LBB17_221
; %bb.220:
	s_mov_b32 s0, 0xf800000
	s_mov_b32 s1, 0x4f800000
	v_mul_f32_e64 v2, |v1|, s1
	v_cmp_lt_f32_e64 vcc, |v1|, s0
	v_mul_f32_e32 v4, 0.5, v4
	v_mul_f32_e32 v3, v3, v4
	v_cndmask_b32_e64 v1, |v1|, v2, vcc
	v_sqrt_f32_e32 v2, v1
	s_nop 0
	v_add_u32_e32 v4, -1, v2
	v_fma_f32 v5, -v4, v2, v1
	v_cmp_ge_f32_e64 s[0:1], 0, v5
	v_add_u32_e32 v5, 1, v2
	s_nop 0
	v_cndmask_b32_e64 v4, v2, v4, s[0:1]
	v_fma_f32 v2, -v5, v2, v1
	v_cmp_lt_f32_e64 s[0:1], 0, v2
	s_nop 1
	v_cndmask_b32_e64 v2, v4, v5, s[0:1]
	v_mul_f32_e32 v4, 0x37800000, v2
	v_cndmask_b32_e32 v2, v2, v4, vcc
	v_mov_b32_e32 v4, 0x260
	v_cmp_class_f32_e32 vcc, v1, v4
	s_nop 1
	v_cndmask_b32_e32 v1, v2, v1, vcc
	v_div_scale_f32 v2, s[0:1], v1, v1, v3
	v_rcp_f32_e32 v4, v2
	s_nop 0
	v_fma_f32 v5, -v2, v4, 1.0
	v_fmac_f32_e32 v4, v5, v4
	v_div_scale_f32 v5, vcc, v3, v1, v3
	v_mul_f32_e32 v6, v5, v4
	v_fma_f32 v7, -v2, v6, v5
	v_fmac_f32_e32 v6, v7, v4
	v_fma_f32 v2, -v2, v6, v5
	v_div_fmas_f32 v2, v2, v4, v6
	v_div_fixup_f32 v2, v2, v1, v3
                                        ; implicit-def: $vgpr1
                                        ; implicit-def: $vgpr4
                                        ; implicit-def: $vgpr3
.LBB17_221:
	s_andn2_saveexec_b64 s[4:5], s[4:5]
	s_cbranch_execz .LBB17_223
; %bb.222:
	s_mov_b32 s0, 0xf800000
	s_mov_b32 s1, 0x4f800000
	v_mul_f32_e64 v2, |v1|, s1
	v_cmp_lt_f32_e64 vcc, |v1|, s0
	s_nop 1
	v_cndmask_b32_e64 v1, |v1|, v2, vcc
	v_sqrt_f32_e32 v2, v1
	s_nop 0
	v_add_u32_e32 v5, -1, v2
	v_fma_f32 v6, -v5, v2, v1
	v_cmp_ge_f32_e64 s[0:1], 0, v6
	v_add_u32_e32 v6, 1, v2
	s_nop 0
	v_cndmask_b32_e64 v5, v2, v5, s[0:1]
	v_fma_f32 v2, -v6, v2, v1
	v_cmp_lt_f32_e64 s[0:1], 0, v2
	s_nop 1
	v_cndmask_b32_e64 v2, v5, v6, s[0:1]
	v_mul_f32_e32 v5, 0x37800000, v2
	v_cndmask_b32_e32 v2, v2, v5, vcc
	v_mov_b32_e32 v5, 0x260
	v_cmp_class_f32_e32 vcc, v1, v5
	s_nop 1
	v_cndmask_b32_e32 v1, v2, v1, vcc
	v_mul_f32_e32 v2, -0.5, v4
	v_mul_f32_e32 v2, v3, v2
	v_div_scale_f32 v3, s[0:1], v1, v1, v2
	v_rcp_f32_e32 v4, v3
	s_nop 0
	v_fma_f32 v5, -v3, v4, 1.0
	v_fmac_f32_e32 v4, v5, v4
	v_div_scale_f32 v5, vcc, v2, v1, v2
	v_mul_f32_e32 v6, v5, v4
	v_fma_f32 v7, -v3, v6, v5
	v_fmac_f32_e32 v6, v7, v4
	v_fma_f32 v3, -v3, v6, v5
	v_div_fmas_f32 v3, v3, v4, v6
	v_div_fixup_f32 v2, v3, v1, v2
.LBB17_223:
	s_or_b64 exec, exec, s[4:5]
.LBB17_224:
	s_or_b64 exec, exec, s[2:3]
	global_store_dword v0, v2, s[16:17]
	s_or_b64 exec, exec, s[48:49]
                                        ; implicit-def: $vgpr16
                                        ; implicit-def: $vgpr4
	s_andn2_saveexec_b64 s[0:1], s[38:39]
	s_cbranch_execz .LBB17_176
	s_branch .LBB17_9
	.section	.rodata,"a",@progbits
	.p2align	6, 0x0
	.amdhsa_kernel _ZN2at6native32elementwise_kernel_manual_unrollILi128ELi4EZNS0_22gpu_kernel_impl_nocastIZZZNS0_12_GLOBAL__N_130modified_bessel_i1_kernel_cudaERNS_18TensorIteratorBaseEENKUlvE_clEvENKUlvE0_clEvEUlfE_EEvS5_RKT_EUlibE_EEviT1_
		.amdhsa_group_segment_fixed_size 0
		.amdhsa_private_segment_fixed_size 0
		.amdhsa_kernarg_size 360
		.amdhsa_user_sgpr_count 2
		.amdhsa_user_sgpr_dispatch_ptr 0
		.amdhsa_user_sgpr_queue_ptr 0
		.amdhsa_user_sgpr_kernarg_segment_ptr 1
		.amdhsa_user_sgpr_dispatch_id 0
		.amdhsa_user_sgpr_kernarg_preload_length 0
		.amdhsa_user_sgpr_kernarg_preload_offset 0
		.amdhsa_user_sgpr_private_segment_size 0
		.amdhsa_uses_dynamic_stack 0
		.amdhsa_enable_private_segment 0
		.amdhsa_system_sgpr_workgroup_id_x 1
		.amdhsa_system_sgpr_workgroup_id_y 0
		.amdhsa_system_sgpr_workgroup_id_z 0
		.amdhsa_system_sgpr_workgroup_info 0
		.amdhsa_system_vgpr_workitem_id 0
		.amdhsa_next_free_vgpr 17
		.amdhsa_next_free_sgpr 60
		.amdhsa_accum_offset 20
		.amdhsa_reserve_vcc 1
		.amdhsa_float_round_mode_32 0
		.amdhsa_float_round_mode_16_64 0
		.amdhsa_float_denorm_mode_32 3
		.amdhsa_float_denorm_mode_16_64 3
		.amdhsa_dx10_clamp 1
		.amdhsa_ieee_mode 1
		.amdhsa_fp16_overflow 0
		.amdhsa_tg_split 0
		.amdhsa_exception_fp_ieee_invalid_op 0
		.amdhsa_exception_fp_denorm_src 0
		.amdhsa_exception_fp_ieee_div_zero 0
		.amdhsa_exception_fp_ieee_overflow 0
		.amdhsa_exception_fp_ieee_underflow 0
		.amdhsa_exception_fp_ieee_inexact 0
		.amdhsa_exception_int_div_zero 0
	.end_amdhsa_kernel
	.section	.text._ZN2at6native32elementwise_kernel_manual_unrollILi128ELi4EZNS0_22gpu_kernel_impl_nocastIZZZNS0_12_GLOBAL__N_130modified_bessel_i1_kernel_cudaERNS_18TensorIteratorBaseEENKUlvE_clEvENKUlvE0_clEvEUlfE_EEvS5_RKT_EUlibE_EEviT1_,"axG",@progbits,_ZN2at6native32elementwise_kernel_manual_unrollILi128ELi4EZNS0_22gpu_kernel_impl_nocastIZZZNS0_12_GLOBAL__N_130modified_bessel_i1_kernel_cudaERNS_18TensorIteratorBaseEENKUlvE_clEvENKUlvE0_clEvEUlfE_EEvS5_RKT_EUlibE_EEviT1_,comdat
.Lfunc_end17:
	.size	_ZN2at6native32elementwise_kernel_manual_unrollILi128ELi4EZNS0_22gpu_kernel_impl_nocastIZZZNS0_12_GLOBAL__N_130modified_bessel_i1_kernel_cudaERNS_18TensorIteratorBaseEENKUlvE_clEvENKUlvE0_clEvEUlfE_EEvS5_RKT_EUlibE_EEviT1_, .Lfunc_end17-_ZN2at6native32elementwise_kernel_manual_unrollILi128ELi4EZNS0_22gpu_kernel_impl_nocastIZZZNS0_12_GLOBAL__N_130modified_bessel_i1_kernel_cudaERNS_18TensorIteratorBaseEENKUlvE_clEvENKUlvE0_clEvEUlfE_EEvS5_RKT_EUlibE_EEviT1_
                                        ; -- End function
	.set _ZN2at6native32elementwise_kernel_manual_unrollILi128ELi4EZNS0_22gpu_kernel_impl_nocastIZZZNS0_12_GLOBAL__N_130modified_bessel_i1_kernel_cudaERNS_18TensorIteratorBaseEENKUlvE_clEvENKUlvE0_clEvEUlfE_EEvS5_RKT_EUlibE_EEviT1_.num_vgpr, 17
	.set _ZN2at6native32elementwise_kernel_manual_unrollILi128ELi4EZNS0_22gpu_kernel_impl_nocastIZZZNS0_12_GLOBAL__N_130modified_bessel_i1_kernel_cudaERNS_18TensorIteratorBaseEENKUlvE_clEvENKUlvE0_clEvEUlfE_EEvS5_RKT_EUlibE_EEviT1_.num_agpr, 0
	.set _ZN2at6native32elementwise_kernel_manual_unrollILi128ELi4EZNS0_22gpu_kernel_impl_nocastIZZZNS0_12_GLOBAL__N_130modified_bessel_i1_kernel_cudaERNS_18TensorIteratorBaseEENKUlvE_clEvENKUlvE0_clEvEUlfE_EEvS5_RKT_EUlibE_EEviT1_.numbered_sgpr, 60
	.set _ZN2at6native32elementwise_kernel_manual_unrollILi128ELi4EZNS0_22gpu_kernel_impl_nocastIZZZNS0_12_GLOBAL__N_130modified_bessel_i1_kernel_cudaERNS_18TensorIteratorBaseEENKUlvE_clEvENKUlvE0_clEvEUlfE_EEvS5_RKT_EUlibE_EEviT1_.num_named_barrier, 0
	.set _ZN2at6native32elementwise_kernel_manual_unrollILi128ELi4EZNS0_22gpu_kernel_impl_nocastIZZZNS0_12_GLOBAL__N_130modified_bessel_i1_kernel_cudaERNS_18TensorIteratorBaseEENKUlvE_clEvENKUlvE0_clEvEUlfE_EEvS5_RKT_EUlibE_EEviT1_.private_seg_size, 0
	.set _ZN2at6native32elementwise_kernel_manual_unrollILi128ELi4EZNS0_22gpu_kernel_impl_nocastIZZZNS0_12_GLOBAL__N_130modified_bessel_i1_kernel_cudaERNS_18TensorIteratorBaseEENKUlvE_clEvENKUlvE0_clEvEUlfE_EEvS5_RKT_EUlibE_EEviT1_.uses_vcc, 1
	.set _ZN2at6native32elementwise_kernel_manual_unrollILi128ELi4EZNS0_22gpu_kernel_impl_nocastIZZZNS0_12_GLOBAL__N_130modified_bessel_i1_kernel_cudaERNS_18TensorIteratorBaseEENKUlvE_clEvENKUlvE0_clEvEUlfE_EEvS5_RKT_EUlibE_EEviT1_.uses_flat_scratch, 0
	.set _ZN2at6native32elementwise_kernel_manual_unrollILi128ELi4EZNS0_22gpu_kernel_impl_nocastIZZZNS0_12_GLOBAL__N_130modified_bessel_i1_kernel_cudaERNS_18TensorIteratorBaseEENKUlvE_clEvENKUlvE0_clEvEUlfE_EEvS5_RKT_EUlibE_EEviT1_.has_dyn_sized_stack, 0
	.set _ZN2at6native32elementwise_kernel_manual_unrollILi128ELi4EZNS0_22gpu_kernel_impl_nocastIZZZNS0_12_GLOBAL__N_130modified_bessel_i1_kernel_cudaERNS_18TensorIteratorBaseEENKUlvE_clEvENKUlvE0_clEvEUlfE_EEvS5_RKT_EUlibE_EEviT1_.has_recursion, 0
	.set _ZN2at6native32elementwise_kernel_manual_unrollILi128ELi4EZNS0_22gpu_kernel_impl_nocastIZZZNS0_12_GLOBAL__N_130modified_bessel_i1_kernel_cudaERNS_18TensorIteratorBaseEENKUlvE_clEvENKUlvE0_clEvEUlfE_EEvS5_RKT_EUlibE_EEviT1_.has_indirect_call, 0
	.section	.AMDGPU.csdata,"",@progbits
; Kernel info:
; codeLenInByte = 19888
; TotalNumSgprs: 66
; NumVgprs: 17
; NumAgprs: 0
; TotalNumVgprs: 17
; ScratchSize: 0
; MemoryBound: 0
; FloatMode: 240
; IeeeMode: 1
; LDSByteSize: 0 bytes/workgroup (compile time only)
; SGPRBlocks: 8
; VGPRBlocks: 2
; NumSGPRsForWavesPerEU: 66
; NumVGPRsForWavesPerEU: 17
; AccumOffset: 20
; Occupancy: 8
; WaveLimiterHint : 1
; COMPUTE_PGM_RSRC2:SCRATCH_EN: 0
; COMPUTE_PGM_RSRC2:USER_SGPR: 2
; COMPUTE_PGM_RSRC2:TRAP_HANDLER: 0
; COMPUTE_PGM_RSRC2:TGID_X_EN: 1
; COMPUTE_PGM_RSRC2:TGID_Y_EN: 0
; COMPUTE_PGM_RSRC2:TGID_Z_EN: 0
; COMPUTE_PGM_RSRC2:TIDIG_COMP_CNT: 0
; COMPUTE_PGM_RSRC3_GFX90A:ACCUM_OFFSET: 4
; COMPUTE_PGM_RSRC3_GFX90A:TG_SPLIT: 0
	.section	.text._ZN2at6native32elementwise_kernel_manual_unrollILi128ELi4EZNS0_15gpu_kernel_implIZZZNS0_12_GLOBAL__N_130modified_bessel_i1_kernel_cudaERNS_18TensorIteratorBaseEENKUlvE_clEvENKUlvE0_clEvEUlfE_EEvS5_RKT_EUlibE_EEviT1_,"axG",@progbits,_ZN2at6native32elementwise_kernel_manual_unrollILi128ELi4EZNS0_15gpu_kernel_implIZZZNS0_12_GLOBAL__N_130modified_bessel_i1_kernel_cudaERNS_18TensorIteratorBaseEENKUlvE_clEvENKUlvE0_clEvEUlfE_EEvS5_RKT_EUlibE_EEviT1_,comdat
	.globl	_ZN2at6native32elementwise_kernel_manual_unrollILi128ELi4EZNS0_15gpu_kernel_implIZZZNS0_12_GLOBAL__N_130modified_bessel_i1_kernel_cudaERNS_18TensorIteratorBaseEENKUlvE_clEvENKUlvE0_clEvEUlfE_EEvS5_RKT_EUlibE_EEviT1_ ; -- Begin function _ZN2at6native32elementwise_kernel_manual_unrollILi128ELi4EZNS0_15gpu_kernel_implIZZZNS0_12_GLOBAL__N_130modified_bessel_i1_kernel_cudaERNS_18TensorIteratorBaseEENKUlvE_clEvENKUlvE0_clEvEUlfE_EEvS5_RKT_EUlibE_EEviT1_
	.p2align	8
	.type	_ZN2at6native32elementwise_kernel_manual_unrollILi128ELi4EZNS0_15gpu_kernel_implIZZZNS0_12_GLOBAL__N_130modified_bessel_i1_kernel_cudaERNS_18TensorIteratorBaseEENKUlvE_clEvENKUlvE0_clEvEUlfE_EEvS5_RKT_EUlibE_EEviT1_,@function
_ZN2at6native32elementwise_kernel_manual_unrollILi128ELi4EZNS0_15gpu_kernel_implIZZZNS0_12_GLOBAL__N_130modified_bessel_i1_kernel_cudaERNS_18TensorIteratorBaseEENKUlvE_clEvENKUlvE0_clEvEUlfE_EEvS5_RKT_EUlibE_EEviT1_: ; @_ZN2at6native32elementwise_kernel_manual_unrollILi128ELi4EZNS0_15gpu_kernel_implIZZZNS0_12_GLOBAL__N_130modified_bessel_i1_kernel_cudaERNS_18TensorIteratorBaseEENKUlvE_clEvENKUlvE0_clEvEUlfE_EEvS5_RKT_EUlibE_EEviT1_
; %bb.0:
	v_mov_b32_e32 v1, 0
	global_load_ushort v1, v1, s[0:1] offset:33
	s_load_dwordx4 s[4:7], s[0:1], 0x8
	s_load_dwordx2 s[8:9], s[0:1], 0x18
	s_load_dword s38, s[0:1], 0x0
	v_lshl_or_b32 v8, s2, 9, v0
	v_or_b32_e32 v0, 0x180, v8
	s_mov_b64 s[10:11], 0
	s_mov_b64 s[12:13], 0
	s_waitcnt lgkmcnt(0)
	v_cmp_le_i32_e32 vcc, s38, v0
	s_waitcnt vmcnt(0)
	v_readfirstlane_b32 s33, v1
	s_and_b32 s0, 0xffff, s33
	s_lshr_b32 s42, s0, 8
	s_and_saveexec_b64 s[0:1], vcc
	s_xor_b64 s[2:3], exec, s[0:1]
	s_cbranch_execz .LBB18_1075
; %bb.1:
	v_cmp_gt_i32_e32 vcc, s38, v8
	s_mov_b64 s[18:19], -1
	s_mov_b64 s[20:21], 0
	s_mov_b64 s[14:15], 0
	s_and_saveexec_b64 s[16:17], vcc
	s_cbranch_execz .LBB18_264
; %bb.2:
	v_mul_lo_u32 v0, v8, s9
	v_ashrrev_i32_e32 v1, 31, v0
	s_and_b32 s22, 0xffff, s42
	s_cmp_lt_i32 s22, 11
	v_lshl_add_u64 v[0:1], s[6:7], 0, v[0:1]
	s_cbranch_scc1 .LBB18_9
; %bb.3:
	s_cmp_gt_i32 s22, 25
	s_cbranch_scc0 .LBB18_30
; %bb.4:
	s_cmp_gt_i32 s22, 28
	s_cbranch_scc0 .LBB18_34
	;; [unrolled: 3-line block ×4, first 2 shown]
; %bb.7:
	s_cmp_eq_u32 s22, 46
	s_cbranch_scc0 .LBB18_40
; %bb.8:
	global_load_dword v2, v[0:1], off
	s_mov_b64 s[0:1], -1
	s_waitcnt vmcnt(0)
	v_lshlrev_b32_e32 v2, 16, v2
	s_branch .LBB18_42
.LBB18_9:
                                        ; implicit-def: $vgpr2
	s_mov_b64 s[0:1], 0
	s_cbranch_execnz .LBB18_215
.LBB18_10:
	s_andn2_b64 vcc, exec, s[0:1]
	s_cbranch_vccnz .LBB18_262
.LBB18_11:
	s_mov_b32 s0, 0x41000000
	s_waitcnt vmcnt(0)
	v_cmp_le_f32_e64 s[0:1], |v2|, s0
                                        ; implicit-def: $vgpr0
	s_and_saveexec_b64 s[12:13], s[0:1]
	s_xor_b64 s[12:13], exec, s[12:13]
	s_cbranch_execz .LBB18_17
; %bb.12:
	v_fma_f32 v0, |v2|, 0.5, -2.0
	v_mov_b32_e32 v1, 0xa3c2be86
	v_fmac_f32_e32 v1, 0x224cf950, v0
	v_fmaak_f32 v3, v0, v1, 0xa24cf950
	v_add_f32_e32 v3, 0x25331f1f, v3
	v_fma_f32 v1, v0, v3, -v1
	v_add_f32_e32 v1, 0xa69f5554, v1
	v_fma_f32 v3, v0, v1, -v3
	;; [unrolled: 2-line block ×25, first 2 shown]
	v_add_f32_e32 v1, 0xbe34a688, v1
	s_mov_b32 s0, 0x3fb8aa3b
	v_fma_f32 v0, v0, v1, -v3
	v_mul_f32_e64 v1, |v2|, s0
	v_rndne_f32_e32 v4, v1
	v_sub_f32_e32 v5, v1, v4
	v_fma_f32 v1, |v2|, s0, -v1
	s_mov_b32 s0, 0x32a5705f
	v_fma_f32 v1, |v2|, s0, v1
	v_add_f32_e32 v1, v5, v1
	v_exp_f32_e32 v5, v1
	v_cvt_i32_f32_e32 v4, v4
	v_add_f32_e32 v0, 0x3e81531c, v0
	v_sub_f32_e32 v0, v0, v3
	v_mul_f32_e32 v0, 0.5, v0
	s_mov_b32 s0, 0xc2ce8ed0
	v_mul_f32_e64 v1, |v2|, v0
	v_ldexp_f32 v0, v5, v4
	v_cmp_nlt_f32_e64 s[0:1], |v2|, s0
	v_mov_b32_e32 v3, 0x7f800000
	v_cmp_ngt_f32_e32 vcc, 0, v2
	v_cndmask_b32_e64 v0, 0, v0, s[0:1]
	s_mov_b32 s0, 0x42b17218
	v_cmp_ngt_f32_e64 s[0:1], |v2|, s0
	s_nop 1
	v_cndmask_b32_e64 v2, v3, v0, s[0:1]
                                        ; implicit-def: $vgpr0
	s_and_saveexec_b64 s[0:1], vcc
	s_xor_b64 s[0:1], exec, s[0:1]
; %bb.13:
	v_mul_f32_e32 v0, v2, v1
                                        ; implicit-def: $vgpr2
                                        ; implicit-def: $vgpr1
; %bb.14:
	s_andn2_saveexec_b64 s[0:1], s[0:1]
; %bb.15:
	v_mul_f32_e64 v0, v1, -v2
; %bb.16:
	s_or_b64 exec, exec, s[0:1]
                                        ; implicit-def: $vgpr2
.LBB18_17:
	s_andn2_saveexec_b64 s[12:13], s[12:13]
	s_cbranch_execz .LBB18_23
; %bb.18:
	v_and_b32_e32 v0, 0x7fffffff, v2
	s_mov_b32 s18, 0x42000000
	v_div_scale_f32 v1, s[0:1], v0, v0, s18
	v_rcp_f32_e32 v3, v1
	v_div_scale_f32 v0, vcc, s18, v0, s18
	s_mov_b32 s0, 0x3fb8aa3b
	v_fma_f32 v4, -v1, v3, 1.0
	v_fmac_f32_e32 v3, v4, v3
	v_mul_f32_e32 v4, v0, v3
	v_fma_f32 v5, -v1, v4, v0
	v_fmac_f32_e32 v4, v5, v3
	v_fma_f32 v0, -v1, v4, v0
	v_div_fmas_f32 v0, v0, v3, v4
	v_div_fixup_f32 v0, v0, |v2|, s18
	v_add_f32_e32 v0, -2.0, v0
	v_mov_b32_e32 v1, 0x22a2dc57
	v_fmac_f32_e32 v1, 0x230aab6e, v0
	v_fmaak_f32 v3, v0, v1, 0xa30aab6e
	v_add_f32_e32 v3, 0xa456751e, v3
	v_fma_f32 v1, v0, v3, -v1
	v_add_f32_e32 v1, 0xa4140365, v1
	v_fma_f32 v3, v0, v1, -v3
	v_add_f32_e32 v3, 0x25aac8b0, v3
	v_fma_f32 v1, v0, v3, -v1
	v_add_f32_e32 v1, 0x25beb473, v1
	v_fma_f32 v3, v0, v1, -v3
	v_add_f32_e32 v3, 0xa7077e6c, v3
	v_fma_f32 v1, v0, v3, -v1
	v_add_f32_e32 v1, 0xa7896da9, v1
	v_fma_f32 v3, v0, v1, -v3
	v_add_f32_e32 v3, 0x283bb70c, v3
	v_fma_f32 v1, v0, v3, -v1
	v_add_f32_e32 v1, 0x294069e1, v1
	v_fma_f32 v3, v0, v1, -v3
	v_add_f32_e32 v3, 0xa8bd4a41, v3
	v_fma_f32 v1, v0, v3, -v1
	v_add_f32_e32 v1, 0xaae5e22c, v1
	v_fma_f32 v3, v0, v1, -v3
	v_add_f32_e32 v3, 0xab4a9f08, v3
	v_fma_f32 v1, v0, v3, -v1
	v_add_f32_e32 v1, 0x2c0f3ea0, v1
	v_fma_f32 v3, v0, v1, -v3
	v_add_f32_e32 v3, 0x2d7880fb, v3
	v_fma_f32 v1, v0, v3, -v1
	v_add_f32_e32 v1, 0x2e0f0d10, v1
	v_fma_f32 v3, v0, v1, -v3
	v_add_f32_e32 v3, 0xada6e7cf, v3
	v_fma_f32 v1, v0, v3, -v1
	v_add_f32_e32 v1, 0xb019a653, v1
	v_fma_f32 v3, v0, v1, -v3
	v_add_f32_e32 v3, 0xb183c85d, v3
	v_fma_f32 v1, v0, v3, -v1
	v_add_f32_e32 v1, 0xb2e20a9d, v1
	v_mul_f32_e64 v4, |v2|, s0
	v_fma_f32 v3, v0, v1, -v3
	v_rndne_f32_e32 v5, v4
	v_add_f32_e32 v3, 0xb486dfe9, v3
	v_sub_f32_e32 v6, v4, v5
	v_fma_f32 v4, |v2|, s0, -v4
	s_mov_b32 s0, 0x32a5705f
	v_fma_f32 v1, v0, v3, -v1
	v_fma_f32 v4, |v2|, s0, v4
	v_add_f32_e32 v1, 0xb68246fa, v1
	v_add_f32_e32 v4, v6, v4
	v_fma_f32 v3, v0, v1, -v3
	v_exp_f32_e32 v4, v4
	v_cvt_i32_f32_e32 v5, v5
	v_add_f32_e32 v3, 0xb8e7ebfc, v3
	v_fma_f32 v1, v0, v3, -v1
	v_add_f32_e32 v1, 0xbc1fed03, v1
	s_mov_b32 s0, 0xc2ce8ed0
	v_fma_f32 v0, v0, v1, -v3
	v_ldexp_f32 v1, v4, v5
	v_cmp_nlt_f32_e64 s[0:1], |v2|, s0
	v_add_f32_e32 v0, 0x3f4750c6, v0
	v_mov_b32_e32 v4, 0x7f800000
	v_cndmask_b32_e64 v1, 0, v1, s[0:1]
	s_mov_b32 s0, 0x42b17218
	v_cmp_ngt_f32_e64 s[0:1], |v2|, s0
	v_cmp_ngt_f32_e32 vcc, 0, v2
	v_sub_f32_e32 v3, v0, v3
	v_cndmask_b32_e64 v1, v4, v1, s[0:1]
                                        ; implicit-def: $vgpr0
	s_and_saveexec_b64 s[0:1], vcc
	s_xor_b64 s[18:19], exec, s[0:1]
	s_cbranch_execz .LBB18_20
; %bb.19:
	s_mov_b32 s0, 0xf800000
	s_mov_b32 s1, 0x4f800000
	v_mul_f32_e64 v0, |v2|, s1
	v_cmp_lt_f32_e64 vcc, |v2|, s0
	v_mul_f32_e32 v3, 0.5, v3
	v_mul_f32_e32 v1, v1, v3
	v_cndmask_b32_e64 v0, |v2|, v0, vcc
	v_sqrt_f32_e32 v2, v0
	s_nop 0
	v_add_u32_e32 v3, -1, v2
	v_fma_f32 v4, -v3, v2, v0
	v_cmp_ge_f32_e64 s[0:1], 0, v4
	v_add_u32_e32 v4, 1, v2
	s_nop 0
	v_cndmask_b32_e64 v3, v2, v3, s[0:1]
	v_fma_f32 v2, -v4, v2, v0
	v_cmp_lt_f32_e64 s[0:1], 0, v2
	s_nop 1
	v_cndmask_b32_e64 v2, v3, v4, s[0:1]
	v_mul_f32_e32 v3, 0x37800000, v2
	v_cndmask_b32_e32 v2, v2, v3, vcc
	v_mov_b32_e32 v3, 0x260
	v_cmp_class_f32_e32 vcc, v0, v3
	s_nop 1
	v_cndmask_b32_e32 v0, v2, v0, vcc
	v_div_scale_f32 v2, s[0:1], v0, v0, v1
	v_rcp_f32_e32 v3, v2
	s_nop 0
	v_fma_f32 v4, -v2, v3, 1.0
	v_fmac_f32_e32 v3, v4, v3
	v_div_scale_f32 v4, vcc, v1, v0, v1
	v_mul_f32_e32 v5, v4, v3
	v_fma_f32 v6, -v2, v5, v4
	v_fmac_f32_e32 v5, v6, v3
	v_fma_f32 v2, -v2, v5, v4
	v_div_fmas_f32 v2, v2, v3, v5
	v_div_fixup_f32 v0, v2, v0, v1
                                        ; implicit-def: $vgpr2
                                        ; implicit-def: $vgpr3
                                        ; implicit-def: $vgpr1
.LBB18_20:
	s_andn2_saveexec_b64 s[18:19], s[18:19]
	s_cbranch_execz .LBB18_22
; %bb.21:
	s_mov_b32 s0, 0xf800000
	s_mov_b32 s1, 0x4f800000
	v_mul_f32_e64 v0, |v2|, s1
	v_cmp_lt_f32_e64 vcc, |v2|, s0
	s_nop 1
	v_cndmask_b32_e64 v0, |v2|, v0, vcc
	v_sqrt_f32_e32 v2, v0
	s_nop 0
	v_add_u32_e32 v4, -1, v2
	v_fma_f32 v5, -v4, v2, v0
	v_cmp_ge_f32_e64 s[0:1], 0, v5
	v_add_u32_e32 v5, 1, v2
	s_nop 0
	v_cndmask_b32_e64 v4, v2, v4, s[0:1]
	v_fma_f32 v2, -v5, v2, v0
	v_cmp_lt_f32_e64 s[0:1], 0, v2
	s_nop 1
	v_cndmask_b32_e64 v2, v4, v5, s[0:1]
	v_mul_f32_e32 v4, 0x37800000, v2
	v_cndmask_b32_e32 v2, v2, v4, vcc
	v_mov_b32_e32 v4, 0x260
	v_cmp_class_f32_e32 vcc, v0, v4
	s_nop 1
	v_cndmask_b32_e32 v0, v2, v0, vcc
	v_mul_f32_e32 v2, -0.5, v3
	v_mul_f32_e32 v1, v1, v2
	v_div_scale_f32 v2, s[0:1], v0, v0, v1
	v_rcp_f32_e32 v3, v2
	s_nop 0
	v_fma_f32 v4, -v2, v3, 1.0
	v_fmac_f32_e32 v3, v4, v3
	v_div_scale_f32 v4, vcc, v1, v0, v1
	v_mul_f32_e32 v5, v4, v3
	v_fma_f32 v6, -v2, v5, v4
	v_fmac_f32_e32 v5, v6, v3
	v_fma_f32 v2, -v2, v5, v4
	v_div_fmas_f32 v2, v2, v3, v5
	v_div_fixup_f32 v0, v2, v0, v1
.LBB18_22:
	s_or_b64 exec, exec, s[18:19]
.LBB18_23:
	s_or_b64 exec, exec, s[12:13]
	v_mul_lo_u32 v2, v8, s8
	v_ashrrev_i32_e32 v3, 31, v2
	s_and_b32 s24, s33, 0xff
	s_cmp_lt_i32 s24, 11
	v_lshl_add_u64 v[2:3], s[4:5], 0, v[2:3]
	s_cbranch_scc1 .LBB18_31
; %bb.24:
	s_and_b32 s25, 0xffff, s24
	s_cmp_gt_i32 s25, 25
	s_cbranch_scc0 .LBB18_35
; %bb.25:
	s_cmp_gt_i32 s25, 28
	s_cbranch_scc0 .LBB18_37
; %bb.26:
	;; [unrolled: 3-line block ×4, first 2 shown]
	s_mov_b64 s[18:19], 0
	s_mov_b64 s[0:1], -1
	s_cmp_eq_u32 s25, 46
	s_mov_b64 s[12:13], 0
	s_cbranch_scc0 .LBB18_46
; %bb.29:
	v_bfe_u32 v1, v0, 16, 1
	s_movk_i32 s0, 0x7fff
	v_add3_u32 v1, v0, v1, s0
	v_cmp_o_f32_e32 vcc, v0, v0
	v_mov_b32_e32 v4, 0x7fc0
	s_mov_b64 s[12:13], -1
	v_cndmask_b32_sdwa v1, v4, v1, vcc dst_sel:DWORD dst_unused:UNUSED_PAD src0_sel:DWORD src1_sel:WORD_1
	global_store_dword v[2:3], v1, off
	s_mov_b64 s[0:1], 0
	s_branch .LBB18_46
.LBB18_30:
	s_mov_b64 s[0:1], 0
                                        ; implicit-def: $vgpr2
	s_cbranch_execnz .LBB18_180
	s_branch .LBB18_214
.LBB18_31:
	s_mov_b64 s[0:1], 0
	s_mov_b64 s[12:13], 0
	s_cbranch_execnz .LBB18_115
.LBB18_32:
	s_andn2_b64 vcc, exec, s[12:13]
	s_cbranch_vccnz .LBB18_153
.LBB18_33:
	v_add_u32_e32 v8, 0x80, v8
	s_mov_b64 s[18:19], -1
	s_branch .LBB18_263
.LBB18_34:
	s_mov_b64 s[12:13], -1
	s_mov_b64 s[0:1], 0
                                        ; implicit-def: $vgpr2
	s_branch .LBB18_161
.LBB18_35:
	s_mov_b64 s[18:19], -1
	s_mov_b64 s[0:1], 0
	s_mov_b64 s[12:13], 0
	s_branch .LBB18_73
.LBB18_36:
	s_mov_b64 s[12:13], -1
	s_mov_b64 s[0:1], 0
                                        ; implicit-def: $vgpr2
	s_branch .LBB18_156
.LBB18_37:
	s_mov_b64 s[18:19], -1
	s_mov_b64 s[0:1], 0
	s_mov_b64 s[12:13], 0
	s_branch .LBB18_56
.LBB18_38:
	s_mov_b64 s[12:13], -1
	s_branch .LBB18_41
.LBB18_39:
	s_mov_b64 s[18:19], -1
	s_mov_b64 s[0:1], 0
	s_mov_b64 s[12:13], 0
	s_branch .LBB18_52
.LBB18_40:
	s_mov_b64 s[14:15], -1
.LBB18_41:
	s_mov_b64 s[0:1], 0
                                        ; implicit-def: $vgpr2
.LBB18_42:
	s_and_b64 vcc, exec, s[12:13]
	s_cbranch_vccz .LBB18_155
; %bb.43:
	s_cmp_eq_u32 s22, 44
	s_cbranch_scc0 .LBB18_154
; %bb.44:
	global_load_ubyte v2, v[0:1], off
	s_movk_i32 s12, 0xff
	v_mov_b32_e32 v3, 0x7f800001
	v_mov_b32_e32 v4, 0x400000
	s_mov_b64 s[0:1], -1
	s_mov_b64 s[14:15], 0
	s_waitcnt vmcnt(0)
	v_lshlrev_b32_e32 v5, 23, v2
	v_cmp_ne_u32_e32 vcc, s12, v2
	s_nop 1
	v_cndmask_b32_e32 v3, v3, v5, vcc
	v_cmp_ne_u32_e32 vcc, 0, v2
	s_nop 1
	v_cndmask_b32_e32 v2, v4, v3, vcc
	s_branch .LBB18_155
.LBB18_45:
	s_mov_b64 s[18:19], -1
	s_mov_b64 s[0:1], 0
	s_mov_b64 s[12:13], 0
.LBB18_46:
	s_and_b64 vcc, exec, s[18:19]
	s_cbranch_vccz .LBB18_51
; %bb.47:
	s_cmp_eq_u32 s25, 44
	s_mov_b64 s[0:1], -1
	s_cbranch_scc0 .LBB18_51
; %bb.48:
	v_bfe_u32 v1, v0, 23, 8
	s_movk_i32 s0, 0xff
	v_cmp_ne_u32_e32 vcc, s0, v1
	v_mov_b32_e32 v4, 0xff
	s_and_saveexec_b64 s[12:13], vcc
; %bb.49:
	s_mov_b32 s0, 0x3fffff
	v_and_b32_e32 v5, 0x400000, v0
	v_and_or_b32 v1, v0, s0, v1
	v_cmp_ne_u32_e32 vcc, 0, v5
	v_cmp_ne_u32_e64 s[0:1], 0, v1
	s_and_b64 s[0:1], vcc, s[0:1]
	v_lshrrev_b32_e32 v4, 23, v0
	v_cndmask_b32_e64 v1, 0, 1, s[0:1]
	v_add_u32_e32 v4, v4, v1
; %bb.50:
	s_or_b64 exec, exec, s[12:13]
	s_mov_b64 s[12:13], -1
	s_mov_b64 s[0:1], 0
	global_store_byte v[2:3], v4, off
.LBB18_51:
	s_mov_b64 s[18:19], 0
.LBB18_52:
	s_and_b64 vcc, exec, s[18:19]
	s_cbranch_vccz .LBB18_55
; %bb.53:
	s_cmp_eq_u32 s25, 29
	s_mov_b64 s[0:1], -1
	s_cbranch_scc0 .LBB18_55
; %bb.54:
	v_trunc_f32_e32 v1, v0
	v_mul_f32_e32 v4, 0x2f800000, v1
	v_floor_f32_e32 v4, v4
	v_fmamk_f32 v1, v4, 0xcf800000, v1
	v_cvt_u32_f32_e32 v5, v4
	v_cvt_u32_f32_e32 v4, v1
	s_mov_b64 s[12:13], -1
	s_mov_b64 s[0:1], 0
	s_mov_b64 s[18:19], 0
	global_store_dwordx2 v[2:3], v[4:5], off
	s_branch .LBB18_56
.LBB18_55:
	s_mov_b64 s[18:19], 0
.LBB18_56:
	s_and_b64 vcc, exec, s[18:19]
	s_cbranch_vccz .LBB18_72
; %bb.57:
	s_cmp_lt_i32 s25, 27
	s_mov_b64 s[12:13], -1
	s_cbranch_scc1 .LBB18_63
; %bb.58:
	v_cvt_u32_f32_e32 v1, v0
	s_cmp_gt_i32 s25, 27
	s_cbranch_scc0 .LBB18_60
; %bb.59:
	s_mov_b64 s[12:13], 0
	global_store_dword v[2:3], v1, off
.LBB18_60:
	s_andn2_b64 vcc, exec, s[12:13]
	s_cbranch_vccnz .LBB18_62
; %bb.61:
	global_store_short v[2:3], v1, off
.LBB18_62:
	s_mov_b64 s[12:13], 0
.LBB18_63:
	s_andn2_b64 vcc, exec, s[12:13]
	s_cbranch_vccnz .LBB18_71
; %bb.64:
	v_and_b32_e32 v1, 0x7fffffff, v0
	s_mov_b32 s12, 0x43800000
	v_cmp_gt_u32_e32 vcc, s12, v1
	v_mov_b32_e32 v4, 0x80
	s_and_saveexec_b64 s[12:13], vcc
	s_cbranch_execz .LBB18_70
; %bb.65:
	s_mov_b32 s18, 0x3bffffff
	v_cmp_lt_u32_e32 vcc, s18, v1
	s_mov_b64 s[18:19], 0
                                        ; implicit-def: $vgpr1
	s_and_saveexec_b64 s[22:23], vcc
	s_xor_b64 s[22:23], exec, s[22:23]
	s_cbranch_execz .LBB18_303
; %bb.66:
	v_bfe_u32 v1, v0, 20, 1
	s_mov_b32 s26, 0x487ffff
	v_add3_u32 v1, v0, v1, s26
	s_mov_b64 s[18:19], exec
	v_lshrrev_b32_e32 v1, 20, v1
	s_andn2_saveexec_b64 s[22:23], s[22:23]
	s_cbranch_execnz .LBB18_304
.LBB18_67:
	s_or_b64 exec, exec, s[22:23]
	v_mov_b32_e32 v4, 0
	s_and_saveexec_b64 s[22:23], s[18:19]
.LBB18_68:
	v_lshrrev_b32_e32 v4, 24, v0
	s_movk_i32 s18, 0x80
	v_and_or_b32 v4, v4, s18, v1
.LBB18_69:
	s_or_b64 exec, exec, s[22:23]
.LBB18_70:
	s_or_b64 exec, exec, s[12:13]
	global_store_byte v[2:3], v4, off
.LBB18_71:
	s_mov_b64 s[12:13], -1
.LBB18_72:
	s_mov_b64 s[18:19], 0
.LBB18_73:
	s_and_b64 vcc, exec, s[18:19]
	s_cbranch_vccz .LBB18_114
; %bb.74:
	s_cmp_gt_i32 s25, 22
	s_mov_b64 s[18:19], -1
	s_cbranch_scc0 .LBB18_106
; %bb.75:
	s_cmp_lt_i32 s25, 24
	s_mov_b64 s[12:13], -1
	s_cbranch_scc1 .LBB18_95
; %bb.76:
	s_cmp_gt_i32 s25, 24
	s_cbranch_scc0 .LBB18_84
; %bb.77:
	v_and_b32_e32 v1, 0x7fffffff, v0
	s_mov_b32 s12, 0x47800000
	v_cmp_gt_u32_e32 vcc, s12, v1
	v_mov_b32_e32 v4, 0x80
	s_and_saveexec_b64 s[12:13], vcc
	s_cbranch_execz .LBB18_83
; %bb.78:
	s_mov_b32 s18, 0x37ffffff
	v_cmp_lt_u32_e32 vcc, s18, v1
	s_mov_b64 s[18:19], 0
                                        ; implicit-def: $vgpr1
	s_and_saveexec_b64 s[22:23], vcc
	s_xor_b64 s[22:23], exec, s[22:23]
	s_cbranch_execz .LBB18_307
; %bb.79:
	v_bfe_u32 v1, v0, 21, 1
	s_mov_b32 s26, 0x88fffff
	v_add3_u32 v1, v0, v1, s26
	s_mov_b64 s[18:19], exec
	v_lshrrev_b32_e32 v1, 21, v1
	s_andn2_saveexec_b64 s[22:23], s[22:23]
	s_cbranch_execnz .LBB18_308
.LBB18_80:
	s_or_b64 exec, exec, s[22:23]
	v_mov_b32_e32 v4, 0
	s_and_saveexec_b64 s[22:23], s[18:19]
.LBB18_81:
	v_lshrrev_b32_e32 v4, 24, v0
	s_movk_i32 s18, 0x80
	v_and_or_b32 v4, v4, s18, v1
.LBB18_82:
	s_or_b64 exec, exec, s[22:23]
.LBB18_83:
	s_or_b64 exec, exec, s[12:13]
	s_mov_b64 s[12:13], 0
	global_store_byte v[2:3], v4, off
.LBB18_84:
	s_and_b64 vcc, exec, s[12:13]
	s_cbranch_vccz .LBB18_94
; %bb.85:
	v_and_b32_e32 v4, 0x7fffffff, v0
	s_mov_b32 s12, 0x43f00000
	v_cmp_gt_u32_e32 vcc, s12, v4
                                        ; implicit-def: $vgpr1
	s_and_saveexec_b64 s[12:13], vcc
	s_xor_b64 s[12:13], exec, s[12:13]
	s_cbranch_execz .LBB18_91
; %bb.86:
	s_mov_b32 s18, 0x3c7fffff
	v_cmp_lt_u32_e32 vcc, s18, v4
                                        ; implicit-def: $vgpr1
	s_and_saveexec_b64 s[18:19], vcc
	s_xor_b64 s[18:19], exec, s[18:19]
; %bb.87:
	v_bfe_u32 v1, v0, 20, 1
	s_mov_b32 s22, 0x407ffff
	v_add3_u32 v1, v0, v1, s22
	v_lshrrev_b32_e32 v4, 20, v1
	v_and_b32_e32 v1, 0xff00000, v1
	s_mov_b32 s22, 0x7f00000
	v_mov_b32_e32 v5, 0x7e
	v_cmp_ne_u32_e32 vcc, s22, v1
	s_nop 1
	v_cndmask_b32_e32 v1, v5, v4, vcc
; %bb.88:
	s_andn2_saveexec_b64 s[18:19], s[18:19]
; %bb.89:
	s_mov_b32 s22, 0x46800000
	v_add_f32_e64 v1, |v0|, s22
; %bb.90:
	s_or_b64 exec, exec, s[18:19]
                                        ; implicit-def: $vgpr4
.LBB18_91:
	s_andn2_saveexec_b64 s[12:13], s[12:13]
; %bb.92:
	s_mov_b32 s18, 0x7f800000
	v_mov_b32_e32 v1, 0x7e
	v_mov_b32_e32 v5, 0x7f
	v_cmp_lt_u32_e32 vcc, s18, v4
	s_nop 1
	v_cndmask_b32_e32 v1, v1, v5, vcc
; %bb.93:
	s_or_b64 exec, exec, s[12:13]
	v_lshrrev_b32_e32 v4, 24, v0
	s_movk_i32 s12, 0x80
	v_and_or_b32 v1, v4, s12, v1
	global_store_byte v[2:3], v1, off
.LBB18_94:
	s_mov_b64 s[12:13], 0
.LBB18_95:
	s_andn2_b64 vcc, exec, s[12:13]
	s_cbranch_vccnz .LBB18_105
; %bb.96:
	v_and_b32_e32 v4, 0x7fffffff, v0
	s_mov_b32 s12, 0x47800000
	v_cmp_gt_u32_e32 vcc, s12, v4
                                        ; implicit-def: $vgpr1
	s_and_saveexec_b64 s[12:13], vcc
	s_xor_b64 s[12:13], exec, s[12:13]
	s_cbranch_execz .LBB18_102
; %bb.97:
	s_mov_b32 s18, 0x387fffff
	v_cmp_lt_u32_e32 vcc, s18, v4
                                        ; implicit-def: $vgpr1
	s_and_saveexec_b64 s[18:19], vcc
	s_xor_b64 s[18:19], exec, s[18:19]
; %bb.98:
	v_bfe_u32 v1, v0, 21, 1
	s_mov_b32 s22, 0x80fffff
	v_add3_u32 v1, v0, v1, s22
	v_lshrrev_b32_e32 v1, 21, v1
; %bb.99:
	s_andn2_saveexec_b64 s[18:19], s[18:19]
; %bb.100:
	s_mov_b32 s22, 0x43000000
	v_add_f32_e64 v1, |v0|, s22
; %bb.101:
	s_or_b64 exec, exec, s[18:19]
                                        ; implicit-def: $vgpr4
.LBB18_102:
	s_andn2_saveexec_b64 s[12:13], s[12:13]
; %bb.103:
	s_mov_b32 s18, 0x7f800000
	v_mov_b32_e32 v1, 0x7c
	v_mov_b32_e32 v5, 0x7f
	v_cmp_lt_u32_e32 vcc, s18, v4
	s_nop 1
	v_cndmask_b32_e32 v1, v1, v5, vcc
; %bb.104:
	s_or_b64 exec, exec, s[12:13]
	v_lshrrev_b32_e32 v4, 24, v0
	s_movk_i32 s12, 0x80
	v_and_or_b32 v1, v4, s12, v1
	global_store_byte v[2:3], v1, off
.LBB18_105:
	s_mov_b64 s[18:19], 0
	s_mov_b64 s[12:13], -1
.LBB18_106:
	s_andn2_b64 vcc, exec, s[18:19]
	s_cbranch_vccnz .LBB18_114
; %bb.107:
	s_cmp_gt_i32 s25, 14
	s_mov_b64 s[18:19], -1
	s_cbranch_scc0 .LBB18_111
; %bb.108:
	s_cmp_eq_u32 s25, 15
	s_mov_b64 s[0:1], -1
	s_cbranch_scc0 .LBB18_110
; %bb.109:
	v_bfe_u32 v1, v0, 16, 1
	s_movk_i32 s0, 0x7fff
	v_add3_u32 v1, v0, v1, s0
	v_cmp_o_f32_e32 vcc, v0, v0
	v_mov_b32_e32 v4, 0x7fc0
	s_mov_b64 s[12:13], -1
	v_cndmask_b32_sdwa v1, v4, v1, vcc dst_sel:DWORD dst_unused:UNUSED_PAD src0_sel:DWORD src1_sel:WORD_1
	global_store_short v[2:3], v1, off
	s_mov_b64 s[0:1], 0
.LBB18_110:
	s_mov_b64 s[18:19], 0
.LBB18_111:
	s_and_b64 vcc, exec, s[18:19]
	s_cbranch_vccz .LBB18_114
; %bb.112:
	s_cmp_eq_u32 s25, 11
	s_mov_b64 s[0:1], -1
	s_cbranch_scc0 .LBB18_114
; %bb.113:
	v_cmp_neq_f32_e32 vcc, 0, v0
	s_mov_b64 s[12:13], -1
	s_mov_b64 s[0:1], 0
	v_cndmask_b32_e64 v1, 0, 1, vcc
	global_store_byte v[2:3], v1, off
.LBB18_114:
	s_branch .LBB18_32
.LBB18_115:
	s_and_b32 s18, 0xffff, s24
	s_cmp_lt_i32 s18, 5
	s_mov_b64 s[12:13], -1
	s_cbranch_scc1 .LBB18_136
; %bb.116:
	s_cmp_lt_i32 s18, 8
	s_cbranch_scc1 .LBB18_126
; %bb.117:
	s_cmp_lt_i32 s18, 9
	s_cbranch_scc1 .LBB18_123
; %bb.118:
	s_cmp_gt_i32 s18, 9
	s_cbranch_scc0 .LBB18_120
; %bb.119:
	v_mov_b32_e32 v6, 0
	v_cvt_f64_f32_e32 v[4:5], v0
	v_mov_b32_e32 v7, v6
	global_store_dwordx4 v[2:3], v[4:7], off
	s_mov_b64 s[12:13], 0
.LBB18_120:
	s_andn2_b64 vcc, exec, s[12:13]
	s_cbranch_vccnz .LBB18_122
; %bb.121:
	v_mov_b32_e32 v1, 0
	global_store_dwordx2 v[2:3], v[0:1], off
.LBB18_122:
	s_mov_b64 s[12:13], 0
.LBB18_123:
	s_andn2_b64 vcc, exec, s[12:13]
	s_cbranch_vccnz .LBB18_125
; %bb.124:
	v_cvt_f16_f32_e32 v1, v0
	global_store_dword v[2:3], v1, off
.LBB18_125:
	s_mov_b64 s[12:13], 0
.LBB18_126:
	s_andn2_b64 vcc, exec, s[12:13]
	s_cbranch_vccnz .LBB18_135
; %bb.127:
	s_cmp_lt_i32 s18, 6
	s_mov_b64 s[12:13], -1
	s_cbranch_scc1 .LBB18_133
; %bb.128:
	s_cmp_gt_i32 s18, 6
	s_cbranch_scc0 .LBB18_130
; %bb.129:
	v_cvt_f64_f32_e32 v[4:5], v0
	global_store_dwordx2 v[2:3], v[4:5], off
	s_mov_b64 s[12:13], 0
.LBB18_130:
	s_andn2_b64 vcc, exec, s[12:13]
	s_cbranch_vccnz .LBB18_132
; %bb.131:
	global_store_dword v[2:3], v0, off
.LBB18_132:
	s_mov_b64 s[12:13], 0
.LBB18_133:
	s_andn2_b64 vcc, exec, s[12:13]
	s_cbranch_vccnz .LBB18_135
; %bb.134:
	v_cvt_f16_f32_e32 v1, v0
	global_store_short v[2:3], v1, off
.LBB18_135:
	s_mov_b64 s[12:13], 0
.LBB18_136:
	s_andn2_b64 vcc, exec, s[12:13]
	s_cbranch_vccnz .LBB18_152
; %bb.137:
	s_cmp_lt_i32 s18, 2
	s_mov_b64 s[12:13], -1
	s_cbranch_scc1 .LBB18_147
; %bb.138:
	s_cmp_lt_i32 s18, 3
	s_cbranch_scc1 .LBB18_144
; %bb.139:
	s_cmp_gt_i32 s18, 3
	s_cbranch_scc0 .LBB18_141
; %bb.140:
	v_trunc_f32_e32 v1, v0
	s_mov_b32 s12, 0x2f800000
	v_mul_f32_e64 v4, |v1|, s12
	v_floor_f32_e32 v4, v4
	s_mov_b32 s12, 0xcf800000
	v_cvt_u32_f32_e32 v5, v4
	v_fma_f32 v4, v4, s12, |v1|
	v_cvt_u32_f32_e32 v4, v4
	v_ashrrev_i32_e32 v1, 31, v1
	v_xor_b32_e32 v5, v5, v1
	s_mov_b64 s[12:13], 0
	v_xor_b32_e32 v4, v4, v1
	v_sub_co_u32_e32 v4, vcc, v4, v1
	s_nop 1
	v_subb_co_u32_e32 v5, vcc, v5, v1, vcc
	global_store_dwordx2 v[2:3], v[4:5], off
.LBB18_141:
	s_andn2_b64 vcc, exec, s[12:13]
	s_cbranch_vccnz .LBB18_143
; %bb.142:
	v_cvt_i32_f32_e32 v1, v0
	global_store_dword v[2:3], v1, off
.LBB18_143:
	s_mov_b64 s[12:13], 0
.LBB18_144:
	s_andn2_b64 vcc, exec, s[12:13]
	s_cbranch_vccnz .LBB18_146
; %bb.145:
	v_cvt_i32_f32_e32 v1, v0
	global_store_short v[2:3], v1, off
.LBB18_146:
	s_mov_b64 s[12:13], 0
.LBB18_147:
	s_andn2_b64 vcc, exec, s[12:13]
	s_cbranch_vccnz .LBB18_152
; %bb.148:
	s_cmp_gt_i32 s18, 0
	s_mov_b64 s[12:13], -1
	s_cbranch_scc0 .LBB18_150
; %bb.149:
	v_cvt_i32_f32_e32 v1, v0
	s_mov_b64 s[12:13], 0
	global_store_byte v[2:3], v1, off
.LBB18_150:
	s_andn2_b64 vcc, exec, s[12:13]
	s_cbranch_vccnz .LBB18_152
; %bb.151:
	v_trunc_f32_e32 v0, v0
	s_mov_b32 s12, 0x2f800000
	v_mul_f32_e64 v1, |v0|, s12
	v_floor_f32_e32 v1, v1
	s_mov_b32 s12, 0xcf800000
	v_fma_f32 v1, v1, s12, |v0|
	v_cvt_u32_f32_e32 v1, v1
	v_ashrrev_i32_e32 v0, 31, v0
	v_xor_b32_e32 v1, v1, v0
	v_sub_u32_e32 v0, v1, v0
	global_store_byte v[2:3], v0, off
.LBB18_152:
	s_branch .LBB18_33
.LBB18_153:
	s_mov_b64 s[18:19], 0
                                        ; implicit-def: $vgpr8
	s_branch .LBB18_263
.LBB18_154:
	s_mov_b64 s[14:15], -1
                                        ; implicit-def: $vgpr2
.LBB18_155:
	s_mov_b64 s[12:13], 0
.LBB18_156:
	s_and_b64 vcc, exec, s[12:13]
	s_cbranch_vccz .LBB18_160
; %bb.157:
	s_cmp_eq_u32 s22, 29
	s_cbranch_scc0 .LBB18_159
; %bb.158:
	global_load_dwordx2 v[2:3], v[0:1], off
	s_mov_b64 s[0:1], -1
	s_mov_b64 s[14:15], 0
	s_mov_b64 s[12:13], 0
	s_waitcnt vmcnt(0)
	v_ffbh_u32_e32 v4, v3
	v_min_u32_e32 v4, 32, v4
	v_lshlrev_b64 v[2:3], v4, v[2:3]
	v_min_u32_e32 v2, 1, v2
	v_or_b32_e32 v2, v3, v2
	v_cvt_f32_u32_e32 v2, v2
	v_sub_u32_e32 v3, 32, v4
	v_ldexp_f32 v2, v2, v3
	s_branch .LBB18_161
.LBB18_159:
	s_mov_b64 s[14:15], -1
                                        ; implicit-def: $vgpr2
.LBB18_160:
	s_mov_b64 s[12:13], 0
.LBB18_161:
	s_and_b64 vcc, exec, s[12:13]
	s_cbranch_vccz .LBB18_179
; %bb.162:
	s_cmp_lt_i32 s22, 27
	s_cbranch_scc1 .LBB18_165
; %bb.163:
	s_cmp_gt_i32 s22, 27
	s_cbranch_scc0 .LBB18_166
; %bb.164:
	global_load_dword v2, v[0:1], off
	s_mov_b64 s[0:1], 0
	s_waitcnt vmcnt(0)
	v_cvt_f32_u32_e32 v2, v2
	s_branch .LBB18_167
.LBB18_165:
	s_mov_b64 s[0:1], -1
                                        ; implicit-def: $vgpr2
	s_branch .LBB18_170
.LBB18_166:
	s_mov_b64 s[0:1], -1
                                        ; implicit-def: $vgpr2
.LBB18_167:
	s_andn2_b64 vcc, exec, s[0:1]
	s_cbranch_vccnz .LBB18_169
; %bb.168:
	global_load_ushort v2, v[0:1], off
	s_waitcnt vmcnt(0)
	v_cvt_f32_u32_e32 v2, v2
.LBB18_169:
	s_mov_b64 s[0:1], 0
.LBB18_170:
	s_andn2_b64 vcc, exec, s[0:1]
	s_cbranch_vccnz .LBB18_178
; %bb.171:
	global_load_ubyte v3, v[0:1], off
	s_movk_i32 s0, 0x7f
	s_waitcnt vmcnt(0)
	v_cmp_lt_i16_e32 vcc, s0, v3
	s_mov_b64 s[0:1], 0
	s_and_saveexec_b64 s[12:13], vcc
	s_xor_b64 s[12:13], exec, s[12:13]
	s_cbranch_execz .LBB18_191
; %bb.172:
	s_movk_i32 s0, 0x80
	v_cmp_eq_u16_e32 vcc, s0, v3
	s_mov_b64 s[0:1], -1
	s_and_saveexec_b64 s[18:19], vcc
; %bb.173:
	s_xor_b64 s[0:1], exec, -1
; %bb.174:
	s_or_b64 exec, exec, s[18:19]
	s_and_b64 s[0:1], s[0:1], exec
	s_or_saveexec_b64 s[12:13], s[12:13]
	v_mov_b32_e32 v2, 0x7f800001
	s_xor_b64 exec, exec, s[12:13]
	s_cbranch_execnz .LBB18_192
.LBB18_175:
	s_or_b64 exec, exec, s[12:13]
	s_and_saveexec_b64 s[12:13], s[0:1]
	s_cbranch_execz .LBB18_177
.LBB18_176:
	v_lshlrev_b32_e32 v2, 24, v3
	v_and_b32_e32 v3, 0xffff, v3
	v_and_b32_e32 v4, 7, v3
	v_ffbh_u32_e32 v6, v4
	v_min_u32_e32 v6, 32, v6
	v_subrev_u32_e32 v7, 28, v6
	v_bfe_u32 v5, v3, 3, 4
	v_lshlrev_b32_e32 v3, v7, v3
	v_sub_u32_e32 v6, 29, v6
	v_and_b32_e32 v3, 7, v3
	v_cmp_eq_u32_e32 vcc, 0, v5
	v_and_b32_e32 v2, 0x80000000, v2
	s_nop 0
	v_cndmask_b32_e32 v5, v5, v6, vcc
	v_cndmask_b32_e32 v3, v4, v3, vcc
	v_mov_b32_e32 v4, 0x3b800000
	v_lshlrev_b32_e32 v3, 20, v3
	v_lshl_add_u32 v4, v5, 23, v4
	v_or3_b32 v2, v2, v4, v3
.LBB18_177:
	s_or_b64 exec, exec, s[12:13]
.LBB18_178:
	s_mov_b64 s[0:1], -1
.LBB18_179:
	s_branch .LBB18_214
.LBB18_180:
	s_cmp_gt_i32 s22, 22
	s_cbranch_scc0 .LBB18_190
; %bb.181:
	s_cmp_lt_i32 s22, 24
	s_cbranch_scc1 .LBB18_193
; %bb.182:
	s_cmp_gt_i32 s22, 24
	s_cbranch_scc0 .LBB18_194
; %bb.183:
	global_load_ubyte v3, v[0:1], off
	s_movk_i32 s0, 0x7f
	s_waitcnt vmcnt(0)
	v_cmp_lt_i16_e32 vcc, s0, v3
	s_mov_b64 s[0:1], 0
	s_and_saveexec_b64 s[12:13], vcc
	s_xor_b64 s[12:13], exec, s[12:13]
	s_cbranch_execz .LBB18_206
; %bb.184:
	s_movk_i32 s0, 0x80
	v_cmp_eq_u16_e32 vcc, s0, v3
	s_mov_b64 s[0:1], -1
	s_and_saveexec_b64 s[18:19], vcc
; %bb.185:
	s_xor_b64 s[0:1], exec, -1
; %bb.186:
	s_or_b64 exec, exec, s[18:19]
	s_and_b64 s[0:1], s[0:1], exec
	s_or_saveexec_b64 s[12:13], s[12:13]
	v_mov_b32_e32 v2, 0x7f800001
	s_xor_b64 exec, exec, s[12:13]
	s_cbranch_execnz .LBB18_207
.LBB18_187:
	s_or_b64 exec, exec, s[12:13]
	s_and_saveexec_b64 s[12:13], s[0:1]
	s_cbranch_execz .LBB18_189
.LBB18_188:
	v_lshlrev_b32_e32 v2, 24, v3
	v_and_b32_e32 v3, 0xffff, v3
	v_and_b32_e32 v4, 3, v3
	v_ffbh_u32_e32 v6, v4
	v_min_u32_e32 v6, 32, v6
	v_subrev_u32_e32 v7, 29, v6
	v_bfe_u32 v5, v3, 2, 5
	v_lshlrev_b32_e32 v3, v7, v3
	v_sub_u32_e32 v6, 30, v6
	v_and_b32_e32 v3, 3, v3
	v_cmp_eq_u32_e32 vcc, 0, v5
	v_and_b32_e32 v2, 0x80000000, v2
	s_nop 0
	v_cndmask_b32_e32 v5, v5, v6, vcc
	v_cndmask_b32_e32 v3, v4, v3, vcc
	v_mov_b32_e32 v4, 0x37800000
	v_lshlrev_b32_e32 v3, 21, v3
	v_lshl_add_u32 v4, v5, 23, v4
	v_or3_b32 v2, v2, v4, v3
.LBB18_189:
	s_or_b64 exec, exec, s[12:13]
	s_mov_b64 s[0:1], 0
	s_branch .LBB18_195
.LBB18_190:
	s_mov_b64 s[12:13], -1
                                        ; implicit-def: $vgpr2
	s_branch .LBB18_201
.LBB18_191:
	s_or_saveexec_b64 s[12:13], s[12:13]
	v_mov_b32_e32 v2, 0x7f800001
	s_xor_b64 exec, exec, s[12:13]
	s_cbranch_execz .LBB18_175
.LBB18_192:
	v_cmp_ne_u16_e32 vcc, 0, v3
	s_andn2_b64 s[0:1], s[0:1], exec
	s_and_b64 s[18:19], vcc, exec
	v_mov_b32_e32 v2, 0
	s_or_b64 s[0:1], s[0:1], s[18:19]
	s_or_b64 exec, exec, s[12:13]
	s_and_saveexec_b64 s[12:13], s[0:1]
	s_cbranch_execnz .LBB18_176
	s_branch .LBB18_177
.LBB18_193:
	s_mov_b64 s[0:1], -1
                                        ; implicit-def: $vgpr2
	s_branch .LBB18_198
.LBB18_194:
	s_mov_b64 s[0:1], -1
                                        ; implicit-def: $vgpr2
.LBB18_195:
	s_and_b64 vcc, exec, s[0:1]
	s_cbranch_vccz .LBB18_197
; %bb.196:
	global_load_ubyte v2, v[0:1], off
	s_mov_b32 s0, 0x7f800000
	s_waitcnt vmcnt(0)
	v_lshlrev_b32_e32 v2, 24, v2
	v_and_b32_e32 v3, 0x7f000000, v2
	v_ffbh_u32_e32 v4, v3
	v_min_u32_e32 v4, 32, v4
	v_sub_u32_e64 v4, v4, 4 clamp
	v_lshlrev_b32_e32 v6, v4, v3
	v_lshlrev_b32_e32 v4, 23, v4
	v_lshrrev_b32_e32 v6, 4, v6
	v_add_u32_e32 v5, 0x1000000, v3
	v_sub_u32_e32 v4, v6, v4
	v_ashrrev_i32_e32 v5, 8, v5
	v_add_u32_e32 v4, 0x3c000000, v4
	v_and_or_b32 v4, v5, s0, v4
	v_cmp_ne_u32_e32 vcc, 0, v3
	s_brev_b32 s0, 1
	s_nop 0
	v_cndmask_b32_e32 v3, 0, v4, vcc
	v_and_or_b32 v2, v2, s0, v3
.LBB18_197:
	s_mov_b64 s[0:1], 0
.LBB18_198:
	s_andn2_b64 vcc, exec, s[0:1]
	s_cbranch_vccnz .LBB18_200
; %bb.199:
	global_load_ubyte v2, v[0:1], off
	s_movk_i32 s0, 0x7f00
	s_brev_b32 s1, 16
	s_waitcnt vmcnt(0)
	v_lshlrev_b16_e32 v3, 8, v2
	v_lshlrev_b32_e32 v2, 25, v2
	v_lshrrev_b32_e32 v4, 4, v2
	v_and_or_b32 v5, v3, s0, 0.5
	v_or_b32_e32 v4, 0x70000000, v4
	v_add_f32_e32 v5, -0.5, v5
	v_mul_f32_e32 v4, 0x7800000, v4
	v_cmp_gt_u32_e32 vcc, s1, v2
	v_bfe_i32 v3, v3, 0, 16
	s_brev_b32 s0, 1
	v_cndmask_b32_e32 v2, v4, v5, vcc
	v_and_or_b32 v2, v3, s0, v2
.LBB18_200:
	s_mov_b64 s[12:13], 0
	s_mov_b64 s[0:1], -1
.LBB18_201:
	s_andn2_b64 vcc, exec, s[12:13]
	s_cbranch_vccnz .LBB18_214
; %bb.202:
	s_cmp_gt_i32 s22, 14
	s_cbranch_scc0 .LBB18_205
; %bb.203:
	s_cmp_eq_u32 s22, 15
	s_cbranch_scc0 .LBB18_208
; %bb.204:
	global_load_ushort v2, v[0:1], off
	s_mov_b64 s[0:1], -1
	s_mov_b64 s[14:15], 0
	s_waitcnt vmcnt(0)
	v_lshlrev_b32_e32 v2, 16, v2
	s_branch .LBB18_209
.LBB18_205:
	s_mov_b64 s[12:13], -1
                                        ; implicit-def: $vgpr2
	s_branch .LBB18_210
.LBB18_206:
	s_or_saveexec_b64 s[12:13], s[12:13]
	v_mov_b32_e32 v2, 0x7f800001
	s_xor_b64 exec, exec, s[12:13]
	s_cbranch_execz .LBB18_187
.LBB18_207:
	v_cmp_ne_u16_e32 vcc, 0, v3
	s_andn2_b64 s[0:1], s[0:1], exec
	s_and_b64 s[18:19], vcc, exec
	v_mov_b32_e32 v2, 0
	s_or_b64 s[0:1], s[0:1], s[18:19]
	s_or_b64 exec, exec, s[12:13]
	s_and_saveexec_b64 s[12:13], s[0:1]
	s_cbranch_execnz .LBB18_188
	s_branch .LBB18_189
.LBB18_208:
	s_mov_b64 s[14:15], -1
                                        ; implicit-def: $vgpr2
.LBB18_209:
	s_mov_b64 s[12:13], 0
.LBB18_210:
	s_and_b64 vcc, exec, s[12:13]
	s_cbranch_vccz .LBB18_214
; %bb.211:
	s_cmp_eq_u32 s22, 11
	s_cbranch_scc0 .LBB18_213
; %bb.212:
	global_load_ubyte v2, v[0:1], off
	s_mov_b64 s[0:1], -1
	s_mov_b64 s[14:15], 0
	s_waitcnt vmcnt(0)
	v_cmp_ne_u16_e32 vcc, 0, v2
	s_nop 1
	v_cndmask_b32_e64 v2, 0, 1.0, vcc
	s_branch .LBB18_214
.LBB18_213:
	s_mov_b64 s[14:15], -1
                                        ; implicit-def: $vgpr2
.LBB18_214:
	s_branch .LBB18_10
.LBB18_215:
	s_cmp_lt_i32 s22, 5
	s_cbranch_scc1 .LBB18_220
; %bb.216:
	s_cmp_lt_i32 s22, 8
	s_cbranch_scc1 .LBB18_221
; %bb.217:
	;; [unrolled: 3-line block ×3, first 2 shown]
	s_cmp_gt_i32 s22, 9
	s_cbranch_scc0 .LBB18_223
; %bb.219:
	global_load_dwordx2 v[2:3], v[0:1], off
	s_mov_b64 s[0:1], 0
	s_waitcnt vmcnt(0)
	v_cvt_f32_f64_e32 v2, v[2:3]
	s_branch .LBB18_224
.LBB18_220:
                                        ; implicit-def: $vgpr2
	s_branch .LBB18_242
.LBB18_221:
	s_mov_b64 s[0:1], -1
                                        ; implicit-def: $vgpr2
	s_branch .LBB18_230
.LBB18_222:
	s_mov_b64 s[0:1], -1
                                        ; implicit-def: $vgpr2
	s_branch .LBB18_227
.LBB18_223:
	s_mov_b64 s[0:1], -1
                                        ; implicit-def: $vgpr2
.LBB18_224:
	s_andn2_b64 vcc, exec, s[0:1]
	s_cbranch_vccnz .LBB18_226
; %bb.225:
	global_load_dword v2, v[0:1], off
.LBB18_226:
	s_mov_b64 s[0:1], 0
.LBB18_227:
	s_andn2_b64 vcc, exec, s[0:1]
	s_cbranch_vccnz .LBB18_229
; %bb.228:
	global_load_dword v2, v[0:1], off
	s_waitcnt vmcnt(0)
	v_cvt_f32_f16_e32 v2, v2
.LBB18_229:
	s_mov_b64 s[0:1], 0
.LBB18_230:
	s_andn2_b64 vcc, exec, s[0:1]
	s_cbranch_vccnz .LBB18_241
; %bb.231:
	s_cmp_lt_i32 s22, 6
	s_cbranch_scc1 .LBB18_234
; %bb.232:
	s_cmp_gt_i32 s22, 6
	s_cbranch_scc0 .LBB18_235
; %bb.233:
	global_load_dwordx2 v[2:3], v[0:1], off
	s_mov_b64 s[0:1], 0
	s_waitcnt vmcnt(0)
	v_cvt_f32_f64_e32 v2, v[2:3]
	s_branch .LBB18_236
.LBB18_234:
	s_mov_b64 s[0:1], -1
                                        ; implicit-def: $vgpr2
	s_branch .LBB18_239
.LBB18_235:
	s_mov_b64 s[0:1], -1
                                        ; implicit-def: $vgpr2
.LBB18_236:
	s_andn2_b64 vcc, exec, s[0:1]
	s_cbranch_vccnz .LBB18_238
; %bb.237:
	global_load_dword v2, v[0:1], off
.LBB18_238:
	s_mov_b64 s[0:1], 0
.LBB18_239:
	s_andn2_b64 vcc, exec, s[0:1]
	s_cbranch_vccnz .LBB18_241
; %bb.240:
	global_load_ushort v2, v[0:1], off
	s_waitcnt vmcnt(0)
	v_cvt_f32_f16_e32 v2, v2
.LBB18_241:
	s_cbranch_execnz .LBB18_261
.LBB18_242:
	s_cmp_lt_i32 s22, 2
	s_cbranch_scc1 .LBB18_246
; %bb.243:
	s_cmp_lt_i32 s22, 3
	s_cbranch_scc1 .LBB18_247
; %bb.244:
	s_cmp_gt_i32 s22, 3
	s_cbranch_scc0 .LBB18_248
; %bb.245:
	global_load_dwordx2 v[2:3], v[0:1], off
	s_mov_b64 s[0:1], 0
	s_waitcnt vmcnt(0)
	v_xor_b32_e32 v5, v2, v3
	v_ffbh_i32_e32 v4, v3
	v_ashrrev_i32_e32 v5, 31, v5
	v_add_u32_e32 v4, -1, v4
	v_add_u32_e32 v5, 32, v5
	v_min_u32_e32 v4, v4, v5
	v_lshlrev_b64 v[2:3], v4, v[2:3]
	v_min_u32_e32 v2, 1, v2
	v_or_b32_e32 v2, v3, v2
	v_cvt_f32_i32_e32 v2, v2
	v_sub_u32_e32 v3, 32, v4
	v_ldexp_f32 v2, v2, v3
	s_branch .LBB18_249
.LBB18_246:
	s_mov_b64 s[0:1], -1
                                        ; implicit-def: $vgpr2
	s_branch .LBB18_255
.LBB18_247:
	s_mov_b64 s[0:1], -1
                                        ; implicit-def: $vgpr2
	s_branch .LBB18_252
.LBB18_248:
	s_mov_b64 s[0:1], -1
                                        ; implicit-def: $vgpr2
.LBB18_249:
	s_andn2_b64 vcc, exec, s[0:1]
	s_cbranch_vccnz .LBB18_251
; %bb.250:
	global_load_dword v2, v[0:1], off
	s_waitcnt vmcnt(0)
	v_cvt_f32_i32_e32 v2, v2
.LBB18_251:
	s_mov_b64 s[0:1], 0
.LBB18_252:
	s_andn2_b64 vcc, exec, s[0:1]
	s_cbranch_vccnz .LBB18_254
; %bb.253:
	global_load_sshort v2, v[0:1], off
	s_waitcnt vmcnt(0)
	v_cvt_f32_i32_e32 v2, v2
.LBB18_254:
	s_mov_b64 s[0:1], 0
.LBB18_255:
	s_andn2_b64 vcc, exec, s[0:1]
	s_cbranch_vccnz .LBB18_261
; %bb.256:
	s_cmp_gt_i32 s22, 0
	s_cbranch_scc0 .LBB18_258
; %bb.257:
	global_load_sbyte v2, v[0:1], off
	s_mov_b64 s[0:1], 0
	s_waitcnt vmcnt(0)
	v_cvt_f32_i32_e32 v2, v2
	s_branch .LBB18_259
.LBB18_258:
	s_mov_b64 s[0:1], -1
                                        ; implicit-def: $vgpr2
.LBB18_259:
	s_andn2_b64 vcc, exec, s[0:1]
	s_cbranch_vccnz .LBB18_261
; %bb.260:
	global_load_ubyte v0, v[0:1], off
	s_waitcnt vmcnt(0)
	v_cvt_f32_ubyte0_e32 v2, v0
.LBB18_261:
	s_branch .LBB18_11
.LBB18_262:
	s_mov_b64 s[0:1], 0
                                        ; implicit-def: $vgpr8
	s_mov_b64 s[18:19], 0
.LBB18_263:
	s_and_b64 s[12:13], s[0:1], exec
	s_and_b64 s[14:15], s[14:15], exec
	s_orn2_b64 s[18:19], s[18:19], exec
.LBB18_264:
	s_or_b64 exec, exec, s[16:17]
	s_mov_b64 s[22:23], 0
	s_mov_b64 s[0:1], 0
                                        ; implicit-def: $vgpr0_vgpr1
                                        ; implicit-def: $vgpr4
	s_and_saveexec_b64 s[16:17], s[18:19]
	s_cbranch_execz .LBB18_273
; %bb.265:
	v_cmp_gt_i32_e32 vcc, s38, v8
	s_mov_b64 s[0:1], -1
	s_mov_b64 s[18:19], s[14:15]
	s_mov_b64 s[20:21], s[12:13]
	s_and_saveexec_b64 s[22:23], vcc
	s_cbranch_execz .LBB18_537
; %bb.266:
	v_mul_lo_u32 v0, v8, s9
	v_ashrrev_i32_e32 v1, 31, v0
	s_and_b32 s26, 0xffff, s42
	s_cmp_lt_i32 s26, 11
	v_lshl_add_u64 v[0:1], s[6:7], 0, v[0:1]
	s_cbranch_scc1 .LBB18_276
; %bb.267:
	s_cmp_gt_i32 s26, 25
	s_cbranch_scc0 .LBB18_297
; %bb.268:
	s_cmp_gt_i32 s26, 28
	s_cbranch_scc0 .LBB18_299
	;; [unrolled: 3-line block ×4, first 2 shown]
; %bb.271:
	s_cmp_eq_u32 s26, 46
	s_mov_b64 s[20:21], 0
	s_cbranch_scc0 .LBB18_309
; %bb.272:
	global_load_dword v2, v[0:1], off
	s_mov_b64 s[18:19], 0
	s_waitcnt vmcnt(0)
	v_lshlrev_b32_e32 v2, 16, v2
	s_branch .LBB18_310
.LBB18_273:
	s_or_b64 exec, exec, s[16:17]
	s_mov_b64 s[16:17], 0
	s_and_saveexec_b64 s[18:19], s[14:15]
	s_cbranch_execnz .LBB18_895
.LBB18_274:
	s_or_b64 exec, exec, s[18:19]
	s_and_saveexec_b64 s[14:15], s[20:21]
	s_xor_b64 s[14:15], exec, s[14:15]
	s_cbranch_execz .LBB18_896
.LBB18_275:
	global_load_ubyte v2, v[0:1], off
	s_or_b64 s[0:1], s[0:1], exec
	s_waitcnt vmcnt(0)
	v_cmp_ne_u16_e32 vcc, 0, v2
	s_nop 1
	v_cndmask_b32_e64 v4, 0, 1.0, vcc
	s_or_b64 exec, exec, s[14:15]
	s_and_saveexec_b64 s[14:15], s[22:23]
	s_cbranch_execz .LBB18_942
	s_branch .LBB18_897
.LBB18_276:
	s_mov_b64 s[0:1], 0
                                        ; implicit-def: $vgpr2
	s_mov_b64 s[18:19], s[14:15]
	s_cbranch_execnz .LBB18_487
.LBB18_277:
	s_andn2_b64 vcc, exec, s[0:1]
	s_cbranch_vccnz .LBB18_535
.LBB18_278:
	s_mov_b32 s0, 0x41000000
	s_waitcnt vmcnt(0)
	v_cmp_le_f32_e64 s[0:1], |v2|, s0
                                        ; implicit-def: $vgpr0
	s_and_saveexec_b64 s[20:21], s[0:1]
	s_xor_b64 s[20:21], exec, s[20:21]
	s_cbranch_execz .LBB18_284
; %bb.279:
	v_fma_f32 v0, |v2|, 0.5, -2.0
	v_mov_b32_e32 v1, 0xa3c2be86
	v_fmac_f32_e32 v1, 0x224cf950, v0
	v_fmaak_f32 v3, v0, v1, 0xa24cf950
	v_add_f32_e32 v3, 0x25331f1f, v3
	v_fma_f32 v1, v0, v3, -v1
	v_add_f32_e32 v1, 0xa69f5554, v1
	v_fma_f32 v3, v0, v1, -v3
	;; [unrolled: 2-line block ×25, first 2 shown]
	v_add_f32_e32 v1, 0xbe34a688, v1
	s_mov_b32 s0, 0x3fb8aa3b
	v_fma_f32 v0, v0, v1, -v3
	v_mul_f32_e64 v1, |v2|, s0
	v_rndne_f32_e32 v4, v1
	v_sub_f32_e32 v5, v1, v4
	v_fma_f32 v1, |v2|, s0, -v1
	s_mov_b32 s0, 0x32a5705f
	v_fma_f32 v1, |v2|, s0, v1
	v_add_f32_e32 v1, v5, v1
	v_exp_f32_e32 v5, v1
	v_cvt_i32_f32_e32 v4, v4
	v_add_f32_e32 v0, 0x3e81531c, v0
	v_sub_f32_e32 v0, v0, v3
	v_mul_f32_e32 v0, 0.5, v0
	s_mov_b32 s0, 0xc2ce8ed0
	v_mul_f32_e64 v1, |v2|, v0
	v_ldexp_f32 v0, v5, v4
	v_cmp_nlt_f32_e64 s[0:1], |v2|, s0
	v_mov_b32_e32 v3, 0x7f800000
	v_cmp_ngt_f32_e32 vcc, 0, v2
	v_cndmask_b32_e64 v0, 0, v0, s[0:1]
	s_mov_b32 s0, 0x42b17218
	v_cmp_ngt_f32_e64 s[0:1], |v2|, s0
	s_nop 1
	v_cndmask_b32_e64 v2, v3, v0, s[0:1]
                                        ; implicit-def: $vgpr0
	s_and_saveexec_b64 s[0:1], vcc
	s_xor_b64 s[0:1], exec, s[0:1]
; %bb.280:
	v_mul_f32_e32 v0, v2, v1
                                        ; implicit-def: $vgpr2
                                        ; implicit-def: $vgpr1
; %bb.281:
	s_andn2_saveexec_b64 s[0:1], s[0:1]
; %bb.282:
	v_mul_f32_e64 v0, v1, -v2
; %bb.283:
	s_or_b64 exec, exec, s[0:1]
                                        ; implicit-def: $vgpr2
.LBB18_284:
	s_andn2_saveexec_b64 s[20:21], s[20:21]
	s_cbranch_execz .LBB18_290
; %bb.285:
	v_and_b32_e32 v0, 0x7fffffff, v2
	s_mov_b32 s24, 0x42000000
	v_div_scale_f32 v1, s[0:1], v0, v0, s24
	v_rcp_f32_e32 v3, v1
	v_div_scale_f32 v0, vcc, s24, v0, s24
	s_mov_b32 s0, 0x3fb8aa3b
	v_fma_f32 v4, -v1, v3, 1.0
	v_fmac_f32_e32 v3, v4, v3
	v_mul_f32_e32 v4, v0, v3
	v_fma_f32 v5, -v1, v4, v0
	v_fmac_f32_e32 v4, v5, v3
	v_fma_f32 v0, -v1, v4, v0
	v_div_fmas_f32 v0, v0, v3, v4
	v_div_fixup_f32 v0, v0, |v2|, s24
	v_add_f32_e32 v0, -2.0, v0
	v_mov_b32_e32 v1, 0x22a2dc57
	v_fmac_f32_e32 v1, 0x230aab6e, v0
	v_fmaak_f32 v3, v0, v1, 0xa30aab6e
	v_add_f32_e32 v3, 0xa456751e, v3
	v_fma_f32 v1, v0, v3, -v1
	v_add_f32_e32 v1, 0xa4140365, v1
	v_fma_f32 v3, v0, v1, -v3
	;; [unrolled: 2-line block ×17, first 2 shown]
	v_add_f32_e32 v1, 0xb2e20a9d, v1
	v_mul_f32_e64 v4, |v2|, s0
	v_fma_f32 v3, v0, v1, -v3
	v_rndne_f32_e32 v5, v4
	v_add_f32_e32 v3, 0xb486dfe9, v3
	v_sub_f32_e32 v6, v4, v5
	v_fma_f32 v4, |v2|, s0, -v4
	s_mov_b32 s0, 0x32a5705f
	v_fma_f32 v1, v0, v3, -v1
	v_fma_f32 v4, |v2|, s0, v4
	v_add_f32_e32 v1, 0xb68246fa, v1
	v_add_f32_e32 v4, v6, v4
	v_fma_f32 v3, v0, v1, -v3
	v_exp_f32_e32 v4, v4
	v_cvt_i32_f32_e32 v5, v5
	v_add_f32_e32 v3, 0xb8e7ebfc, v3
	v_fma_f32 v1, v0, v3, -v1
	v_add_f32_e32 v1, 0xbc1fed03, v1
	s_mov_b32 s0, 0xc2ce8ed0
	v_fma_f32 v0, v0, v1, -v3
	v_ldexp_f32 v1, v4, v5
	v_cmp_nlt_f32_e64 s[0:1], |v2|, s0
	v_add_f32_e32 v0, 0x3f4750c6, v0
	v_mov_b32_e32 v4, 0x7f800000
	v_cndmask_b32_e64 v1, 0, v1, s[0:1]
	s_mov_b32 s0, 0x42b17218
	v_cmp_ngt_f32_e64 s[0:1], |v2|, s0
	v_cmp_ngt_f32_e32 vcc, 0, v2
	v_sub_f32_e32 v3, v0, v3
	v_cndmask_b32_e64 v1, v4, v1, s[0:1]
                                        ; implicit-def: $vgpr0
	s_and_saveexec_b64 s[0:1], vcc
	s_xor_b64 s[24:25], exec, s[0:1]
	s_cbranch_execz .LBB18_287
; %bb.286:
	s_mov_b32 s0, 0xf800000
	s_mov_b32 s1, 0x4f800000
	v_mul_f32_e64 v0, |v2|, s1
	v_cmp_lt_f32_e64 vcc, |v2|, s0
	v_mul_f32_e32 v3, 0.5, v3
	v_mul_f32_e32 v1, v1, v3
	v_cndmask_b32_e64 v0, |v2|, v0, vcc
	v_sqrt_f32_e32 v2, v0
	s_nop 0
	v_add_u32_e32 v3, -1, v2
	v_fma_f32 v4, -v3, v2, v0
	v_cmp_ge_f32_e64 s[0:1], 0, v4
	v_add_u32_e32 v4, 1, v2
	s_nop 0
	v_cndmask_b32_e64 v3, v2, v3, s[0:1]
	v_fma_f32 v2, -v4, v2, v0
	v_cmp_lt_f32_e64 s[0:1], 0, v2
	s_nop 1
	v_cndmask_b32_e64 v2, v3, v4, s[0:1]
	v_mul_f32_e32 v3, 0x37800000, v2
	v_cndmask_b32_e32 v2, v2, v3, vcc
	v_mov_b32_e32 v3, 0x260
	v_cmp_class_f32_e32 vcc, v0, v3
	s_nop 1
	v_cndmask_b32_e32 v0, v2, v0, vcc
	v_div_scale_f32 v2, s[0:1], v0, v0, v1
	v_rcp_f32_e32 v3, v2
	s_nop 0
	v_fma_f32 v4, -v2, v3, 1.0
	v_fmac_f32_e32 v3, v4, v3
	v_div_scale_f32 v4, vcc, v1, v0, v1
	v_mul_f32_e32 v5, v4, v3
	v_fma_f32 v6, -v2, v5, v4
	v_fmac_f32_e32 v5, v6, v3
	v_fma_f32 v2, -v2, v5, v4
	v_div_fmas_f32 v2, v2, v3, v5
	v_div_fixup_f32 v0, v2, v0, v1
                                        ; implicit-def: $vgpr2
                                        ; implicit-def: $vgpr3
                                        ; implicit-def: $vgpr1
.LBB18_287:
	s_andn2_saveexec_b64 s[24:25], s[24:25]
	s_cbranch_execz .LBB18_289
; %bb.288:
	s_mov_b32 s0, 0xf800000
	s_mov_b32 s1, 0x4f800000
	v_mul_f32_e64 v0, |v2|, s1
	v_cmp_lt_f32_e64 vcc, |v2|, s0
	s_nop 1
	v_cndmask_b32_e64 v0, |v2|, v0, vcc
	v_sqrt_f32_e32 v2, v0
	s_nop 0
	v_add_u32_e32 v4, -1, v2
	v_fma_f32 v5, -v4, v2, v0
	v_cmp_ge_f32_e64 s[0:1], 0, v5
	v_add_u32_e32 v5, 1, v2
	s_nop 0
	v_cndmask_b32_e64 v4, v2, v4, s[0:1]
	v_fma_f32 v2, -v5, v2, v0
	v_cmp_lt_f32_e64 s[0:1], 0, v2
	s_nop 1
	v_cndmask_b32_e64 v2, v4, v5, s[0:1]
	v_mul_f32_e32 v4, 0x37800000, v2
	v_cndmask_b32_e32 v2, v2, v4, vcc
	v_mov_b32_e32 v4, 0x260
	v_cmp_class_f32_e32 vcc, v0, v4
	s_nop 1
	v_cndmask_b32_e32 v0, v2, v0, vcc
	v_mul_f32_e32 v2, -0.5, v3
	v_mul_f32_e32 v1, v1, v2
	v_div_scale_f32 v2, s[0:1], v0, v0, v1
	v_rcp_f32_e32 v3, v2
	s_nop 0
	v_fma_f32 v4, -v2, v3, 1.0
	v_fmac_f32_e32 v3, v4, v3
	v_div_scale_f32 v4, vcc, v1, v0, v1
	v_mul_f32_e32 v5, v4, v3
	v_fma_f32 v6, -v2, v5, v4
	v_fmac_f32_e32 v5, v6, v3
	v_fma_f32 v2, -v2, v5, v4
	v_div_fmas_f32 v2, v2, v3, v5
	v_div_fixup_f32 v0, v2, v0, v1
.LBB18_289:
	s_or_b64 exec, exec, s[24:25]
.LBB18_290:
	s_or_b64 exec, exec, s[20:21]
	v_mul_lo_u32 v2, v8, s8
	v_ashrrev_i32_e32 v3, 31, v2
	s_and_b32 s28, s33, 0xff
	s_cmp_lt_i32 s28, 11
	v_lshl_add_u64 v[2:3], s[4:5], 0, v[2:3]
	s_cbranch_scc1 .LBB18_298
; %bb.291:
	s_and_b32 s29, 0xffff, s28
	s_cmp_gt_i32 s29, 25
	s_cbranch_scc0 .LBB18_300
; %bb.292:
	s_cmp_gt_i32 s29, 28
	s_cbranch_scc0 .LBB18_302
; %bb.293:
	;; [unrolled: 3-line block ×4, first 2 shown]
	s_mov_b64 s[24:25], 0
	s_mov_b64 s[0:1], -1
	s_cmp_eq_u32 s29, 46
	s_mov_b64 s[20:21], 0
	s_cbranch_scc0 .LBB18_314
; %bb.296:
	v_bfe_u32 v1, v0, 16, 1
	s_movk_i32 s0, 0x7fff
	v_add3_u32 v1, v0, v1, s0
	v_cmp_o_f32_e32 vcc, v0, v0
	v_mov_b32_e32 v4, 0x7fc0
	s_mov_b64 s[20:21], -1
	v_cndmask_b32_sdwa v1, v4, v1, vcc dst_sel:DWORD dst_unused:UNUSED_PAD src0_sel:DWORD src1_sel:WORD_1
	global_store_dword v[2:3], v1, off
	s_mov_b64 s[0:1], 0
	s_branch .LBB18_314
.LBB18_297:
	s_mov_b64 s[20:21], -1
	s_mov_b64 s[0:1], 0
	s_mov_b64 s[18:19], s[14:15]
                                        ; implicit-def: $vgpr2
	s_branch .LBB18_451
.LBB18_298:
	s_mov_b64 s[24:25], -1
	s_mov_b64 s[20:21], 0
	s_mov_b64 s[0:1], s[12:13]
	s_branch .LBB18_383
.LBB18_299:
	s_mov_b64 s[20:21], -1
	s_mov_b64 s[0:1], 0
	s_mov_b64 s[18:19], s[14:15]
                                        ; implicit-def: $vgpr2
	s_branch .LBB18_432
.LBB18_300:
	s_mov_b64 s[24:25], -1
	s_mov_b64 s[20:21], 0
	s_mov_b64 s[0:1], s[12:13]
	s_branch .LBB18_341
.LBB18_301:
	s_mov_b64 s[20:21], -1
	s_mov_b64 s[0:1], 0
	s_mov_b64 s[18:19], s[14:15]
                                        ; implicit-def: $vgpr2
	s_branch .LBB18_427
.LBB18_302:
	s_mov_b64 s[24:25], -1
	s_mov_b64 s[20:21], 0
	s_mov_b64 s[0:1], s[12:13]
	s_branch .LBB18_324
.LBB18_303:
	s_andn2_saveexec_b64 s[22:23], s[22:23]
	s_cbranch_execz .LBB18_67
.LBB18_304:
	s_mov_b32 s26, 0x46000000
	v_add_f32_e64 v1, |v0|, s26
	v_and_b32_e32 v1, 0xff, v1
	v_cmp_ne_u32_e32 vcc, 0, v1
	s_andn2_b64 s[18:19], s[18:19], exec
	s_and_b64 s[26:27], vcc, exec
	s_or_b64 s[18:19], s[18:19], s[26:27]
	s_or_b64 exec, exec, s[22:23]
	v_mov_b32_e32 v4, 0
	s_and_saveexec_b64 s[22:23], s[18:19]
	s_cbranch_execnz .LBB18_68
	s_branch .LBB18_69
.LBB18_305:
	s_mov_b64 s[20:21], -1
	s_mov_b64 s[0:1], 0
	s_mov_b64 s[18:19], s[14:15]
                                        ; implicit-def: $vgpr2
	s_branch .LBB18_310
.LBB18_306:
	s_mov_b64 s[24:25], -1
	s_mov_b64 s[20:21], 0
	s_mov_b64 s[0:1], s[12:13]
	s_branch .LBB18_320
.LBB18_307:
	s_andn2_saveexec_b64 s[22:23], s[22:23]
	s_cbranch_execz .LBB18_80
.LBB18_308:
	s_mov_b32 s26, 0x42800000
	v_add_f32_e64 v1, |v0|, s26
	v_and_b32_e32 v1, 0xff, v1
	v_cmp_ne_u32_e32 vcc, 0, v1
	s_andn2_b64 s[18:19], s[18:19], exec
	s_and_b64 s[26:27], vcc, exec
	s_or_b64 s[18:19], s[18:19], s[26:27]
	s_or_b64 exec, exec, s[22:23]
	v_mov_b32_e32 v4, 0
	s_and_saveexec_b64 s[22:23], s[18:19]
	s_cbranch_execnz .LBB18_81
	s_branch .LBB18_82
.LBB18_309:
	s_mov_b64 s[18:19], -1
                                        ; implicit-def: $vgpr2
	s_mov_b64 s[0:1], 0
.LBB18_310:
	s_and_b64 vcc, exec, s[20:21]
	s_cbranch_vccz .LBB18_426
; %bb.311:
	s_cmp_eq_u32 s26, 44
	s_cbranch_scc0 .LBB18_425
; %bb.312:
	global_load_ubyte v2, v[0:1], off
	s_movk_i32 s18, 0xff
	v_mov_b32_e32 v3, 0x7f800001
	v_mov_b32_e32 v4, 0x400000
	s_mov_b64 s[0:1], -1
	s_waitcnt vmcnt(0)
	v_lshlrev_b32_e32 v5, 23, v2
	v_cmp_ne_u32_e32 vcc, s18, v2
	s_mov_b64 s[18:19], 0
	s_nop 0
	v_cndmask_b32_e32 v3, v3, v5, vcc
	v_cmp_ne_u32_e32 vcc, 0, v2
	s_nop 1
	v_cndmask_b32_e32 v2, v4, v3, vcc
	s_branch .LBB18_426
.LBB18_313:
	s_mov_b64 s[24:25], -1
	s_mov_b64 s[20:21], 0
	s_mov_b64 s[0:1], s[12:13]
.LBB18_314:
	s_and_b64 vcc, exec, s[24:25]
	s_cbranch_vccz .LBB18_319
; %bb.315:
	s_cmp_eq_u32 s29, 44
	s_mov_b64 s[0:1], -1
	s_cbranch_scc0 .LBB18_319
; %bb.316:
	v_bfe_u32 v1, v0, 23, 8
	s_movk_i32 s0, 0xff
	v_cmp_ne_u32_e32 vcc, s0, v1
	v_mov_b32_e32 v4, 0xff
	s_and_saveexec_b64 s[20:21], vcc
; %bb.317:
	s_mov_b32 s0, 0x3fffff
	v_and_b32_e32 v5, 0x400000, v0
	v_and_or_b32 v1, v0, s0, v1
	v_cmp_ne_u32_e32 vcc, 0, v5
	v_cmp_ne_u32_e64 s[0:1], 0, v1
	s_and_b64 s[0:1], vcc, s[0:1]
	v_lshrrev_b32_e32 v4, 23, v0
	v_cndmask_b32_e64 v1, 0, 1, s[0:1]
	v_add_u32_e32 v4, v4, v1
; %bb.318:
	s_or_b64 exec, exec, s[20:21]
	s_mov_b64 s[20:21], -1
	s_mov_b64 s[0:1], 0
	global_store_byte v[2:3], v4, off
.LBB18_319:
	s_mov_b64 s[24:25], 0
.LBB18_320:
	s_and_b64 vcc, exec, s[24:25]
	s_cbranch_vccz .LBB18_323
; %bb.321:
	s_cmp_eq_u32 s29, 29
	s_mov_b64 s[0:1], -1
	s_cbranch_scc0 .LBB18_323
; %bb.322:
	v_trunc_f32_e32 v1, v0
	v_mul_f32_e32 v4, 0x2f800000, v1
	v_floor_f32_e32 v4, v4
	v_fmamk_f32 v1, v4, 0xcf800000, v1
	v_cvt_u32_f32_e32 v5, v4
	v_cvt_u32_f32_e32 v4, v1
	s_mov_b64 s[20:21], -1
	s_mov_b64 s[0:1], 0
	s_mov_b64 s[24:25], 0
	global_store_dwordx2 v[2:3], v[4:5], off
	s_branch .LBB18_324
.LBB18_323:
	s_mov_b64 s[24:25], 0
.LBB18_324:
	s_and_b64 vcc, exec, s[24:25]
	s_cbranch_vccz .LBB18_340
; %bb.325:
	s_cmp_lt_i32 s29, 27
	s_mov_b64 s[20:21], -1
	s_cbranch_scc1 .LBB18_331
; %bb.326:
	v_cvt_u32_f32_e32 v1, v0
	s_cmp_gt_i32 s29, 27
	s_cbranch_scc0 .LBB18_328
; %bb.327:
	s_mov_b64 s[20:21], 0
	global_store_dword v[2:3], v1, off
.LBB18_328:
	s_andn2_b64 vcc, exec, s[20:21]
	s_cbranch_vccnz .LBB18_330
; %bb.329:
	global_store_short v[2:3], v1, off
.LBB18_330:
	s_mov_b64 s[20:21], 0
.LBB18_331:
	s_andn2_b64 vcc, exec, s[20:21]
	s_cbranch_vccnz .LBB18_339
; %bb.332:
	v_and_b32_e32 v1, 0x7fffffff, v0
	s_mov_b32 s20, 0x43800000
	v_cmp_gt_u32_e32 vcc, s20, v1
	v_mov_b32_e32 v4, 0x80
	s_and_saveexec_b64 s[20:21], vcc
	s_cbranch_execz .LBB18_338
; %bb.333:
	s_mov_b32 s24, 0x3bffffff
	v_cmp_lt_u32_e32 vcc, s24, v1
	s_mov_b64 s[24:25], 0
                                        ; implicit-def: $vgpr1
	s_and_saveexec_b64 s[26:27], vcc
	s_xor_b64 s[26:27], exec, s[26:27]
	s_cbranch_execz .LBB18_550
; %bb.334:
	v_bfe_u32 v1, v0, 20, 1
	s_mov_b32 s30, 0x487ffff
	v_add3_u32 v1, v0, v1, s30
	s_mov_b64 s[24:25], exec
	v_lshrrev_b32_e32 v1, 20, v1
	s_andn2_saveexec_b64 s[26:27], s[26:27]
	s_cbranch_execnz .LBB18_551
.LBB18_335:
	s_or_b64 exec, exec, s[26:27]
	v_mov_b32_e32 v4, 0
	s_and_saveexec_b64 s[26:27], s[24:25]
.LBB18_336:
	v_lshrrev_b32_e32 v4, 24, v0
	s_movk_i32 s24, 0x80
	v_and_or_b32 v4, v4, s24, v1
.LBB18_337:
	s_or_b64 exec, exec, s[26:27]
.LBB18_338:
	s_or_b64 exec, exec, s[20:21]
	global_store_byte v[2:3], v4, off
.LBB18_339:
	s_mov_b64 s[20:21], -1
.LBB18_340:
	s_mov_b64 s[24:25], 0
.LBB18_341:
	s_and_b64 vcc, exec, s[24:25]
	s_cbranch_vccz .LBB18_382
; %bb.342:
	s_cmp_gt_i32 s29, 22
	s_mov_b64 s[24:25], -1
	s_cbranch_scc0 .LBB18_374
; %bb.343:
	s_cmp_lt_i32 s29, 24
	s_mov_b64 s[20:21], -1
	s_cbranch_scc1 .LBB18_363
; %bb.344:
	s_cmp_gt_i32 s29, 24
	s_cbranch_scc0 .LBB18_352
; %bb.345:
	v_and_b32_e32 v1, 0x7fffffff, v0
	s_mov_b32 s20, 0x47800000
	v_cmp_gt_u32_e32 vcc, s20, v1
	v_mov_b32_e32 v4, 0x80
	s_and_saveexec_b64 s[20:21], vcc
	s_cbranch_execz .LBB18_351
; %bb.346:
	s_mov_b32 s24, 0x37ffffff
	v_cmp_lt_u32_e32 vcc, s24, v1
	s_mov_b64 s[24:25], 0
                                        ; implicit-def: $vgpr1
	s_and_saveexec_b64 s[26:27], vcc
	s_xor_b64 s[26:27], exec, s[26:27]
	s_cbranch_execz .LBB18_553
; %bb.347:
	v_bfe_u32 v1, v0, 21, 1
	s_mov_b32 s30, 0x88fffff
	v_add3_u32 v1, v0, v1, s30
	s_mov_b64 s[24:25], exec
	v_lshrrev_b32_e32 v1, 21, v1
	s_andn2_saveexec_b64 s[26:27], s[26:27]
	s_cbranch_execnz .LBB18_554
.LBB18_348:
	s_or_b64 exec, exec, s[26:27]
	v_mov_b32_e32 v4, 0
	s_and_saveexec_b64 s[26:27], s[24:25]
.LBB18_349:
	v_lshrrev_b32_e32 v4, 24, v0
	s_movk_i32 s24, 0x80
	v_and_or_b32 v4, v4, s24, v1
.LBB18_350:
	s_or_b64 exec, exec, s[26:27]
.LBB18_351:
	s_or_b64 exec, exec, s[20:21]
	s_mov_b64 s[20:21], 0
	global_store_byte v[2:3], v4, off
.LBB18_352:
	s_and_b64 vcc, exec, s[20:21]
	s_cbranch_vccz .LBB18_362
; %bb.353:
	v_and_b32_e32 v4, 0x7fffffff, v0
	s_mov_b32 s20, 0x43f00000
	v_cmp_gt_u32_e32 vcc, s20, v4
                                        ; implicit-def: $vgpr1
	s_and_saveexec_b64 s[20:21], vcc
	s_xor_b64 s[20:21], exec, s[20:21]
	s_cbranch_execz .LBB18_359
; %bb.354:
	s_mov_b32 s24, 0x3c7fffff
	v_cmp_lt_u32_e32 vcc, s24, v4
                                        ; implicit-def: $vgpr1
	s_and_saveexec_b64 s[24:25], vcc
	s_xor_b64 s[24:25], exec, s[24:25]
; %bb.355:
	v_bfe_u32 v1, v0, 20, 1
	s_mov_b32 s26, 0x407ffff
	v_add3_u32 v1, v0, v1, s26
	v_lshrrev_b32_e32 v4, 20, v1
	v_and_b32_e32 v1, 0xff00000, v1
	s_mov_b32 s26, 0x7f00000
	v_mov_b32_e32 v5, 0x7e
	v_cmp_ne_u32_e32 vcc, s26, v1
	s_nop 1
	v_cndmask_b32_e32 v1, v5, v4, vcc
; %bb.356:
	s_andn2_saveexec_b64 s[24:25], s[24:25]
; %bb.357:
	s_mov_b32 s26, 0x46800000
	v_add_f32_e64 v1, |v0|, s26
; %bb.358:
	s_or_b64 exec, exec, s[24:25]
                                        ; implicit-def: $vgpr4
.LBB18_359:
	s_andn2_saveexec_b64 s[20:21], s[20:21]
; %bb.360:
	s_mov_b32 s24, 0x7f800000
	v_mov_b32_e32 v1, 0x7e
	v_mov_b32_e32 v5, 0x7f
	v_cmp_lt_u32_e32 vcc, s24, v4
	s_nop 1
	v_cndmask_b32_e32 v1, v1, v5, vcc
; %bb.361:
	s_or_b64 exec, exec, s[20:21]
	v_lshrrev_b32_e32 v4, 24, v0
	s_movk_i32 s20, 0x80
	v_and_or_b32 v1, v4, s20, v1
	global_store_byte v[2:3], v1, off
.LBB18_362:
	s_mov_b64 s[20:21], 0
.LBB18_363:
	s_andn2_b64 vcc, exec, s[20:21]
	s_cbranch_vccnz .LBB18_373
; %bb.364:
	v_and_b32_e32 v4, 0x7fffffff, v0
	s_mov_b32 s20, 0x47800000
	v_cmp_gt_u32_e32 vcc, s20, v4
                                        ; implicit-def: $vgpr1
	s_and_saveexec_b64 s[20:21], vcc
	s_xor_b64 s[20:21], exec, s[20:21]
	s_cbranch_execz .LBB18_370
; %bb.365:
	s_mov_b32 s24, 0x387fffff
	v_cmp_lt_u32_e32 vcc, s24, v4
                                        ; implicit-def: $vgpr1
	s_and_saveexec_b64 s[24:25], vcc
	s_xor_b64 s[24:25], exec, s[24:25]
; %bb.366:
	v_bfe_u32 v1, v0, 21, 1
	s_mov_b32 s26, 0x80fffff
	v_add3_u32 v1, v0, v1, s26
	v_lshrrev_b32_e32 v1, 21, v1
; %bb.367:
	s_andn2_saveexec_b64 s[24:25], s[24:25]
; %bb.368:
	s_mov_b32 s26, 0x43000000
	v_add_f32_e64 v1, |v0|, s26
; %bb.369:
	s_or_b64 exec, exec, s[24:25]
                                        ; implicit-def: $vgpr4
.LBB18_370:
	s_andn2_saveexec_b64 s[20:21], s[20:21]
; %bb.371:
	s_mov_b32 s24, 0x7f800000
	v_mov_b32_e32 v1, 0x7c
	v_mov_b32_e32 v5, 0x7f
	v_cmp_lt_u32_e32 vcc, s24, v4
	s_nop 1
	v_cndmask_b32_e32 v1, v1, v5, vcc
; %bb.372:
	s_or_b64 exec, exec, s[20:21]
	v_lshrrev_b32_e32 v4, 24, v0
	s_movk_i32 s20, 0x80
	v_and_or_b32 v1, v4, s20, v1
	global_store_byte v[2:3], v1, off
.LBB18_373:
	s_mov_b64 s[24:25], 0
	s_mov_b64 s[20:21], -1
.LBB18_374:
	s_andn2_b64 vcc, exec, s[24:25]
	s_cbranch_vccnz .LBB18_382
; %bb.375:
	s_cmp_gt_i32 s29, 14
	s_mov_b64 s[24:25], -1
	s_cbranch_scc0 .LBB18_379
; %bb.376:
	s_cmp_eq_u32 s29, 15
	s_mov_b64 s[0:1], -1
	s_cbranch_scc0 .LBB18_378
; %bb.377:
	v_bfe_u32 v1, v0, 16, 1
	s_movk_i32 s0, 0x7fff
	v_add3_u32 v1, v0, v1, s0
	v_cmp_o_f32_e32 vcc, v0, v0
	v_mov_b32_e32 v4, 0x7fc0
	s_mov_b64 s[20:21], -1
	v_cndmask_b32_sdwa v1, v4, v1, vcc dst_sel:DWORD dst_unused:UNUSED_PAD src0_sel:DWORD src1_sel:WORD_1
	global_store_short v[2:3], v1, off
	s_mov_b64 s[0:1], 0
.LBB18_378:
	s_mov_b64 s[24:25], 0
.LBB18_379:
	s_and_b64 vcc, exec, s[24:25]
	s_cbranch_vccz .LBB18_382
; %bb.380:
	s_cmp_eq_u32 s29, 11
	s_mov_b64 s[0:1], -1
	s_cbranch_scc0 .LBB18_382
; %bb.381:
	v_cmp_neq_f32_e32 vcc, 0, v0
	s_mov_b64 s[20:21], -1
	s_mov_b64 s[0:1], 0
	v_cndmask_b32_e64 v1, 0, 1, vcc
	global_store_byte v[2:3], v1, off
.LBB18_382:
	s_mov_b64 s[24:25], 0
.LBB18_383:
	s_and_b64 vcc, exec, s[24:25]
	s_cbranch_vccz .LBB18_422
; %bb.384:
	s_and_b32 s24, 0xffff, s28
	s_cmp_lt_i32 s24, 5
	s_mov_b64 s[20:21], -1
	s_cbranch_scc1 .LBB18_405
; %bb.385:
	s_cmp_lt_i32 s24, 8
	s_cbranch_scc1 .LBB18_395
; %bb.386:
	s_cmp_lt_i32 s24, 9
	s_cbranch_scc1 .LBB18_392
; %bb.387:
	s_cmp_gt_i32 s24, 9
	s_cbranch_scc0 .LBB18_389
; %bb.388:
	v_mov_b32_e32 v6, 0
	v_cvt_f64_f32_e32 v[4:5], v0
	v_mov_b32_e32 v7, v6
	s_mov_b64 s[20:21], 0
	global_store_dwordx4 v[2:3], v[4:7], off
.LBB18_389:
	s_andn2_b64 vcc, exec, s[20:21]
	s_cbranch_vccnz .LBB18_391
; %bb.390:
	v_mov_b32_e32 v1, 0
	global_store_dwordx2 v[2:3], v[0:1], off
.LBB18_391:
	s_mov_b64 s[20:21], 0
.LBB18_392:
	s_andn2_b64 vcc, exec, s[20:21]
	s_cbranch_vccnz .LBB18_394
; %bb.393:
	v_cvt_f16_f32_e32 v1, v0
	global_store_dword v[2:3], v1, off
.LBB18_394:
	s_mov_b64 s[20:21], 0
.LBB18_395:
	s_andn2_b64 vcc, exec, s[20:21]
	s_cbranch_vccnz .LBB18_404
; %bb.396:
	s_cmp_lt_i32 s24, 6
	s_mov_b64 s[20:21], -1
	s_cbranch_scc1 .LBB18_402
; %bb.397:
	s_cmp_gt_i32 s24, 6
	s_cbranch_scc0 .LBB18_399
; %bb.398:
	v_cvt_f64_f32_e32 v[4:5], v0
	s_mov_b64 s[20:21], 0
	global_store_dwordx2 v[2:3], v[4:5], off
.LBB18_399:
	s_andn2_b64 vcc, exec, s[20:21]
	s_cbranch_vccnz .LBB18_401
; %bb.400:
	global_store_dword v[2:3], v0, off
.LBB18_401:
	s_mov_b64 s[20:21], 0
.LBB18_402:
	s_andn2_b64 vcc, exec, s[20:21]
	s_cbranch_vccnz .LBB18_404
; %bb.403:
	v_cvt_f16_f32_e32 v1, v0
	global_store_short v[2:3], v1, off
.LBB18_404:
	s_mov_b64 s[20:21], 0
.LBB18_405:
	s_andn2_b64 vcc, exec, s[20:21]
	s_cbranch_vccnz .LBB18_421
; %bb.406:
	s_cmp_lt_i32 s24, 2
	s_mov_b64 s[20:21], -1
	s_cbranch_scc1 .LBB18_416
; %bb.407:
	s_cmp_lt_i32 s24, 3
	s_cbranch_scc1 .LBB18_413
; %bb.408:
	s_cmp_gt_i32 s24, 3
	s_cbranch_scc0 .LBB18_410
; %bb.409:
	v_trunc_f32_e32 v1, v0
	s_mov_b32 s20, 0x2f800000
	v_mul_f32_e64 v4, |v1|, s20
	v_floor_f32_e32 v4, v4
	s_mov_b32 s20, 0xcf800000
	v_cvt_u32_f32_e32 v5, v4
	v_fma_f32 v4, v4, s20, |v1|
	v_cvt_u32_f32_e32 v4, v4
	v_ashrrev_i32_e32 v1, 31, v1
	v_xor_b32_e32 v5, v5, v1
	s_mov_b64 s[20:21], 0
	v_xor_b32_e32 v4, v4, v1
	v_sub_co_u32_e32 v4, vcc, v4, v1
	s_nop 1
	v_subb_co_u32_e32 v5, vcc, v5, v1, vcc
	global_store_dwordx2 v[2:3], v[4:5], off
.LBB18_410:
	s_andn2_b64 vcc, exec, s[20:21]
	s_cbranch_vccnz .LBB18_412
; %bb.411:
	v_cvt_i32_f32_e32 v1, v0
	global_store_dword v[2:3], v1, off
.LBB18_412:
	s_mov_b64 s[20:21], 0
.LBB18_413:
	s_andn2_b64 vcc, exec, s[20:21]
	s_cbranch_vccnz .LBB18_415
; %bb.414:
	v_cvt_i32_f32_e32 v1, v0
	global_store_short v[2:3], v1, off
.LBB18_415:
	s_mov_b64 s[20:21], 0
.LBB18_416:
	s_andn2_b64 vcc, exec, s[20:21]
	s_cbranch_vccnz .LBB18_421
; %bb.417:
	s_cmp_gt_i32 s24, 0
	s_mov_b64 s[20:21], -1
	s_cbranch_scc0 .LBB18_419
; %bb.418:
	v_cvt_i32_f32_e32 v1, v0
	s_mov_b64 s[20:21], 0
	global_store_byte v[2:3], v1, off
.LBB18_419:
	s_andn2_b64 vcc, exec, s[20:21]
	s_cbranch_vccnz .LBB18_421
; %bb.420:
	v_trunc_f32_e32 v0, v0
	s_mov_b32 s20, 0x2f800000
	v_mul_f32_e64 v1, |v0|, s20
	v_floor_f32_e32 v1, v1
	s_mov_b32 s20, 0xcf800000
	v_fma_f32 v1, v1, s20, |v0|
	v_cvt_u32_f32_e32 v1, v1
	v_ashrrev_i32_e32 v0, 31, v0
	v_xor_b32_e32 v1, v1, v0
	v_sub_u32_e32 v0, v1, v0
	global_store_byte v[2:3], v0, off
.LBB18_421:
	s_mov_b64 s[20:21], -1
.LBB18_422:
	s_andn2_b64 vcc, exec, s[20:21]
	s_cbranch_vccnz .LBB18_424
; %bb.423:
	v_add_u32_e32 v8, 0x80, v8
	s_mov_b64 s[24:25], -1
	s_branch .LBB18_536
.LBB18_424:
	s_mov_b64 s[24:25], 0
                                        ; implicit-def: $vgpr8
	s_branch .LBB18_536
.LBB18_425:
	s_mov_b64 s[18:19], -1
                                        ; implicit-def: $vgpr2
.LBB18_426:
	s_mov_b64 s[20:21], 0
.LBB18_427:
	s_and_b64 vcc, exec, s[20:21]
	s_cbranch_vccz .LBB18_431
; %bb.428:
	s_cmp_eq_u32 s26, 29
	s_cbranch_scc0 .LBB18_430
; %bb.429:
	global_load_dwordx2 v[2:3], v[0:1], off
	s_mov_b64 s[0:1], -1
	s_mov_b64 s[18:19], 0
	s_mov_b64 s[20:21], 0
	s_waitcnt vmcnt(0)
	v_ffbh_u32_e32 v4, v3
	v_min_u32_e32 v4, 32, v4
	v_lshlrev_b64 v[2:3], v4, v[2:3]
	v_min_u32_e32 v2, 1, v2
	v_or_b32_e32 v2, v3, v2
	v_cvt_f32_u32_e32 v2, v2
	v_sub_u32_e32 v3, 32, v4
	v_ldexp_f32 v2, v2, v3
	s_branch .LBB18_432
.LBB18_430:
	s_mov_b64 s[18:19], -1
                                        ; implicit-def: $vgpr2
.LBB18_431:
	s_mov_b64 s[20:21], 0
.LBB18_432:
	s_and_b64 vcc, exec, s[20:21]
	s_cbranch_vccz .LBB18_450
; %bb.433:
	s_cmp_lt_i32 s26, 27
	s_cbranch_scc1 .LBB18_436
; %bb.434:
	s_cmp_gt_i32 s26, 27
	s_cbranch_scc0 .LBB18_437
; %bb.435:
	global_load_dword v2, v[0:1], off
	s_mov_b64 s[0:1], 0
	s_waitcnt vmcnt(0)
	v_cvt_f32_u32_e32 v2, v2
	s_branch .LBB18_438
.LBB18_436:
	s_mov_b64 s[0:1], -1
                                        ; implicit-def: $vgpr2
	s_branch .LBB18_441
.LBB18_437:
	s_mov_b64 s[0:1], -1
                                        ; implicit-def: $vgpr2
.LBB18_438:
	s_andn2_b64 vcc, exec, s[0:1]
	s_cbranch_vccnz .LBB18_440
; %bb.439:
	global_load_ushort v2, v[0:1], off
	s_waitcnt vmcnt(0)
	v_cvt_f32_u32_e32 v2, v2
.LBB18_440:
	s_mov_b64 s[0:1], 0
.LBB18_441:
	s_andn2_b64 vcc, exec, s[0:1]
	s_cbranch_vccnz .LBB18_449
; %bb.442:
	global_load_ubyte v3, v[0:1], off
	s_movk_i32 s0, 0x7f
	s_waitcnt vmcnt(0)
	v_cmp_lt_i16_e32 vcc, s0, v3
	s_mov_b64 s[0:1], 0
	s_and_saveexec_b64 s[20:21], vcc
	s_xor_b64 s[20:21], exec, s[20:21]
	s_cbranch_execz .LBB18_463
; %bb.443:
	s_movk_i32 s0, 0x80
	v_cmp_eq_u16_e32 vcc, s0, v3
	s_mov_b64 s[0:1], -1
	s_and_saveexec_b64 s[24:25], vcc
; %bb.444:
	s_xor_b64 s[0:1], exec, -1
; %bb.445:
	s_or_b64 exec, exec, s[24:25]
	s_and_b64 s[0:1], s[0:1], exec
	s_or_saveexec_b64 s[20:21], s[20:21]
	v_mov_b32_e32 v2, 0x7f800001
	s_xor_b64 exec, exec, s[20:21]
	s_cbranch_execnz .LBB18_464
.LBB18_446:
	s_or_b64 exec, exec, s[20:21]
	s_and_saveexec_b64 s[20:21], s[0:1]
	s_cbranch_execz .LBB18_448
.LBB18_447:
	v_lshlrev_b32_e32 v2, 24, v3
	v_and_b32_e32 v3, 0xffff, v3
	v_and_b32_e32 v4, 7, v3
	v_ffbh_u32_e32 v6, v4
	v_min_u32_e32 v6, 32, v6
	v_subrev_u32_e32 v7, 28, v6
	v_bfe_u32 v5, v3, 3, 4
	v_lshlrev_b32_e32 v3, v7, v3
	v_sub_u32_e32 v6, 29, v6
	v_and_b32_e32 v3, 7, v3
	v_cmp_eq_u32_e32 vcc, 0, v5
	v_and_b32_e32 v2, 0x80000000, v2
	s_nop 0
	v_cndmask_b32_e32 v5, v5, v6, vcc
	v_cndmask_b32_e32 v3, v4, v3, vcc
	v_mov_b32_e32 v4, 0x3b800000
	v_lshlrev_b32_e32 v3, 20, v3
	v_lshl_add_u32 v4, v5, 23, v4
	v_or3_b32 v2, v2, v4, v3
.LBB18_448:
	s_or_b64 exec, exec, s[20:21]
.LBB18_449:
	s_mov_b64 s[0:1], -1
.LBB18_450:
	s_mov_b64 s[20:21], 0
.LBB18_451:
	s_and_b64 vcc, exec, s[20:21]
	s_cbranch_vccz .LBB18_486
; %bb.452:
	s_cmp_gt_i32 s26, 22
	s_cbranch_scc0 .LBB18_462
; %bb.453:
	s_cmp_lt_i32 s26, 24
	s_cbranch_scc1 .LBB18_465
; %bb.454:
	s_cmp_gt_i32 s26, 24
	s_cbranch_scc0 .LBB18_466
; %bb.455:
	global_load_ubyte v3, v[0:1], off
	s_movk_i32 s0, 0x7f
	s_waitcnt vmcnt(0)
	v_cmp_lt_i16_e32 vcc, s0, v3
	s_mov_b64 s[0:1], 0
	s_and_saveexec_b64 s[20:21], vcc
	s_xor_b64 s[20:21], exec, s[20:21]
	s_cbranch_execz .LBB18_478
; %bb.456:
	s_movk_i32 s0, 0x80
	v_cmp_eq_u16_e32 vcc, s0, v3
	s_mov_b64 s[0:1], -1
	s_and_saveexec_b64 s[24:25], vcc
; %bb.457:
	s_xor_b64 s[0:1], exec, -1
; %bb.458:
	s_or_b64 exec, exec, s[24:25]
	s_and_b64 s[0:1], s[0:1], exec
	s_or_saveexec_b64 s[20:21], s[20:21]
	v_mov_b32_e32 v2, 0x7f800001
	s_xor_b64 exec, exec, s[20:21]
	s_cbranch_execnz .LBB18_479
.LBB18_459:
	s_or_b64 exec, exec, s[20:21]
	s_and_saveexec_b64 s[20:21], s[0:1]
	s_cbranch_execz .LBB18_461
.LBB18_460:
	v_lshlrev_b32_e32 v2, 24, v3
	v_and_b32_e32 v3, 0xffff, v3
	v_and_b32_e32 v4, 3, v3
	v_ffbh_u32_e32 v6, v4
	v_min_u32_e32 v6, 32, v6
	v_subrev_u32_e32 v7, 29, v6
	v_bfe_u32 v5, v3, 2, 5
	v_lshlrev_b32_e32 v3, v7, v3
	v_sub_u32_e32 v6, 30, v6
	v_and_b32_e32 v3, 3, v3
	v_cmp_eq_u32_e32 vcc, 0, v5
	v_and_b32_e32 v2, 0x80000000, v2
	s_nop 0
	v_cndmask_b32_e32 v5, v5, v6, vcc
	v_cndmask_b32_e32 v3, v4, v3, vcc
	v_mov_b32_e32 v4, 0x37800000
	v_lshlrev_b32_e32 v3, 21, v3
	v_lshl_add_u32 v4, v5, 23, v4
	v_or3_b32 v2, v2, v4, v3
.LBB18_461:
	s_or_b64 exec, exec, s[20:21]
	s_mov_b64 s[0:1], 0
	s_branch .LBB18_467
.LBB18_462:
	s_mov_b64 s[20:21], -1
                                        ; implicit-def: $vgpr2
	s_branch .LBB18_473
.LBB18_463:
	s_or_saveexec_b64 s[20:21], s[20:21]
	v_mov_b32_e32 v2, 0x7f800001
	s_xor_b64 exec, exec, s[20:21]
	s_cbranch_execz .LBB18_446
.LBB18_464:
	v_cmp_ne_u16_e32 vcc, 0, v3
	s_andn2_b64 s[0:1], s[0:1], exec
	s_and_b64 s[24:25], vcc, exec
	v_mov_b32_e32 v2, 0
	s_or_b64 s[0:1], s[0:1], s[24:25]
	s_or_b64 exec, exec, s[20:21]
	s_and_saveexec_b64 s[20:21], s[0:1]
	s_cbranch_execnz .LBB18_447
	s_branch .LBB18_448
.LBB18_465:
	s_mov_b64 s[0:1], -1
                                        ; implicit-def: $vgpr2
	s_branch .LBB18_470
.LBB18_466:
	s_mov_b64 s[0:1], -1
                                        ; implicit-def: $vgpr2
.LBB18_467:
	s_and_b64 vcc, exec, s[0:1]
	s_cbranch_vccz .LBB18_469
; %bb.468:
	global_load_ubyte v2, v[0:1], off
	s_mov_b32 s0, 0x7f800000
	s_waitcnt vmcnt(0)
	v_lshlrev_b32_e32 v2, 24, v2
	v_and_b32_e32 v3, 0x7f000000, v2
	v_ffbh_u32_e32 v4, v3
	v_min_u32_e32 v4, 32, v4
	v_sub_u32_e64 v4, v4, 4 clamp
	v_lshlrev_b32_e32 v6, v4, v3
	v_lshlrev_b32_e32 v4, 23, v4
	v_lshrrev_b32_e32 v6, 4, v6
	v_add_u32_e32 v5, 0x1000000, v3
	v_sub_u32_e32 v4, v6, v4
	v_ashrrev_i32_e32 v5, 8, v5
	v_add_u32_e32 v4, 0x3c000000, v4
	v_and_or_b32 v4, v5, s0, v4
	v_cmp_ne_u32_e32 vcc, 0, v3
	s_brev_b32 s0, 1
	s_nop 0
	v_cndmask_b32_e32 v3, 0, v4, vcc
	v_and_or_b32 v2, v2, s0, v3
.LBB18_469:
	s_mov_b64 s[0:1], 0
.LBB18_470:
	s_andn2_b64 vcc, exec, s[0:1]
	s_cbranch_vccnz .LBB18_472
; %bb.471:
	global_load_ubyte v2, v[0:1], off
	s_movk_i32 s0, 0x7f00
	s_brev_b32 s1, 16
	s_waitcnt vmcnt(0)
	v_lshlrev_b16_e32 v3, 8, v2
	v_lshlrev_b32_e32 v2, 25, v2
	v_lshrrev_b32_e32 v4, 4, v2
	v_and_or_b32 v5, v3, s0, 0.5
	v_or_b32_e32 v4, 0x70000000, v4
	v_add_f32_e32 v5, -0.5, v5
	v_mul_f32_e32 v4, 0x7800000, v4
	v_cmp_gt_u32_e32 vcc, s1, v2
	v_bfe_i32 v3, v3, 0, 16
	s_brev_b32 s0, 1
	v_cndmask_b32_e32 v2, v4, v5, vcc
	v_and_or_b32 v2, v3, s0, v2
.LBB18_472:
	s_mov_b64 s[20:21], 0
	s_mov_b64 s[0:1], -1
.LBB18_473:
	s_andn2_b64 vcc, exec, s[20:21]
	s_cbranch_vccnz .LBB18_486
; %bb.474:
	s_cmp_gt_i32 s26, 14
	s_cbranch_scc0 .LBB18_477
; %bb.475:
	s_cmp_eq_u32 s26, 15
	s_cbranch_scc0 .LBB18_480
; %bb.476:
	global_load_ushort v2, v[0:1], off
	s_mov_b64 s[0:1], -1
	s_mov_b64 s[18:19], 0
	s_waitcnt vmcnt(0)
	v_lshlrev_b32_e32 v2, 16, v2
	s_branch .LBB18_481
.LBB18_477:
	s_mov_b64 s[20:21], -1
                                        ; implicit-def: $vgpr2
	s_branch .LBB18_482
.LBB18_478:
	s_or_saveexec_b64 s[20:21], s[20:21]
	v_mov_b32_e32 v2, 0x7f800001
	s_xor_b64 exec, exec, s[20:21]
	s_cbranch_execz .LBB18_459
.LBB18_479:
	v_cmp_ne_u16_e32 vcc, 0, v3
	s_andn2_b64 s[0:1], s[0:1], exec
	s_and_b64 s[24:25], vcc, exec
	v_mov_b32_e32 v2, 0
	s_or_b64 s[0:1], s[0:1], s[24:25]
	s_or_b64 exec, exec, s[20:21]
	s_and_saveexec_b64 s[20:21], s[0:1]
	s_cbranch_execnz .LBB18_460
	s_branch .LBB18_461
.LBB18_480:
	s_mov_b64 s[18:19], -1
                                        ; implicit-def: $vgpr2
.LBB18_481:
	s_mov_b64 s[20:21], 0
.LBB18_482:
	s_and_b64 vcc, exec, s[20:21]
	s_cbranch_vccz .LBB18_486
; %bb.483:
	s_cmp_eq_u32 s26, 11
	s_cbranch_scc0 .LBB18_485
; %bb.484:
	global_load_ubyte v2, v[0:1], off
	s_mov_b64 s[0:1], -1
	s_mov_b64 s[18:19], 0
	s_waitcnt vmcnt(0)
	v_cmp_ne_u16_e32 vcc, 0, v2
	s_nop 1
	v_cndmask_b32_e64 v2, 0, 1.0, vcc
	s_branch .LBB18_486
.LBB18_485:
	s_mov_b64 s[18:19], -1
                                        ; implicit-def: $vgpr2
.LBB18_486:
	s_branch .LBB18_277
.LBB18_487:
	s_cmp_lt_i32 s26, 5
	s_cbranch_scc1 .LBB18_492
; %bb.488:
	s_cmp_lt_i32 s26, 8
	s_cbranch_scc1 .LBB18_493
; %bb.489:
	;; [unrolled: 3-line block ×3, first 2 shown]
	s_cmp_gt_i32 s26, 9
	s_cbranch_scc0 .LBB18_495
; %bb.491:
	global_load_dwordx2 v[2:3], v[0:1], off
	s_mov_b64 s[0:1], 0
	s_waitcnt vmcnt(0)
	v_cvt_f32_f64_e32 v2, v[2:3]
	s_branch .LBB18_496
.LBB18_492:
	s_mov_b64 s[0:1], -1
                                        ; implicit-def: $vgpr2
	s_branch .LBB18_514
.LBB18_493:
	s_mov_b64 s[0:1], -1
                                        ; implicit-def: $vgpr2
	s_branch .LBB18_502
.LBB18_494:
	s_mov_b64 s[0:1], -1
                                        ; implicit-def: $vgpr2
	s_branch .LBB18_499
.LBB18_495:
	s_mov_b64 s[0:1], -1
                                        ; implicit-def: $vgpr2
.LBB18_496:
	s_andn2_b64 vcc, exec, s[0:1]
	s_cbranch_vccnz .LBB18_498
; %bb.497:
	global_load_dword v2, v[0:1], off
.LBB18_498:
	s_mov_b64 s[0:1], 0
.LBB18_499:
	s_andn2_b64 vcc, exec, s[0:1]
	s_cbranch_vccnz .LBB18_501
; %bb.500:
	global_load_dword v2, v[0:1], off
	s_waitcnt vmcnt(0)
	v_cvt_f32_f16_e32 v2, v2
.LBB18_501:
	s_mov_b64 s[0:1], 0
.LBB18_502:
	s_andn2_b64 vcc, exec, s[0:1]
	s_cbranch_vccnz .LBB18_513
; %bb.503:
	s_cmp_lt_i32 s26, 6
	s_cbranch_scc1 .LBB18_506
; %bb.504:
	s_cmp_gt_i32 s26, 6
	s_cbranch_scc0 .LBB18_507
; %bb.505:
	global_load_dwordx2 v[2:3], v[0:1], off
	s_mov_b64 s[0:1], 0
	s_waitcnt vmcnt(0)
	v_cvt_f32_f64_e32 v2, v[2:3]
	s_branch .LBB18_508
.LBB18_506:
	s_mov_b64 s[0:1], -1
                                        ; implicit-def: $vgpr2
	s_branch .LBB18_511
.LBB18_507:
	s_mov_b64 s[0:1], -1
                                        ; implicit-def: $vgpr2
.LBB18_508:
	s_andn2_b64 vcc, exec, s[0:1]
	s_cbranch_vccnz .LBB18_510
; %bb.509:
	global_load_dword v2, v[0:1], off
.LBB18_510:
	s_mov_b64 s[0:1], 0
.LBB18_511:
	s_andn2_b64 vcc, exec, s[0:1]
	s_cbranch_vccnz .LBB18_513
; %bb.512:
	global_load_ushort v2, v[0:1], off
	s_waitcnt vmcnt(0)
	v_cvt_f32_f16_e32 v2, v2
.LBB18_513:
	s_mov_b64 s[0:1], 0
.LBB18_514:
	s_andn2_b64 vcc, exec, s[0:1]
	s_cbranch_vccnz .LBB18_534
; %bb.515:
	s_cmp_lt_i32 s26, 2
	s_cbranch_scc1 .LBB18_519
; %bb.516:
	s_cmp_lt_i32 s26, 3
	s_cbranch_scc1 .LBB18_520
; %bb.517:
	s_cmp_gt_i32 s26, 3
	s_cbranch_scc0 .LBB18_521
; %bb.518:
	global_load_dwordx2 v[2:3], v[0:1], off
	s_mov_b64 s[0:1], 0
	s_waitcnt vmcnt(0)
	v_xor_b32_e32 v5, v2, v3
	v_ffbh_i32_e32 v4, v3
	v_ashrrev_i32_e32 v5, 31, v5
	v_add_u32_e32 v4, -1, v4
	v_add_u32_e32 v5, 32, v5
	v_min_u32_e32 v4, v4, v5
	v_lshlrev_b64 v[2:3], v4, v[2:3]
	v_min_u32_e32 v2, 1, v2
	v_or_b32_e32 v2, v3, v2
	v_cvt_f32_i32_e32 v2, v2
	v_sub_u32_e32 v3, 32, v4
	v_ldexp_f32 v2, v2, v3
	s_branch .LBB18_522
.LBB18_519:
	s_mov_b64 s[0:1], -1
                                        ; implicit-def: $vgpr2
	s_branch .LBB18_528
.LBB18_520:
	s_mov_b64 s[0:1], -1
                                        ; implicit-def: $vgpr2
	s_branch .LBB18_525
.LBB18_521:
	s_mov_b64 s[0:1], -1
                                        ; implicit-def: $vgpr2
.LBB18_522:
	s_andn2_b64 vcc, exec, s[0:1]
	s_cbranch_vccnz .LBB18_524
; %bb.523:
	global_load_dword v2, v[0:1], off
	s_waitcnt vmcnt(0)
	v_cvt_f32_i32_e32 v2, v2
.LBB18_524:
	s_mov_b64 s[0:1], 0
.LBB18_525:
	s_andn2_b64 vcc, exec, s[0:1]
	s_cbranch_vccnz .LBB18_527
; %bb.526:
	global_load_sshort v2, v[0:1], off
	s_waitcnt vmcnt(0)
	v_cvt_f32_i32_e32 v2, v2
.LBB18_527:
	s_mov_b64 s[0:1], 0
.LBB18_528:
	s_andn2_b64 vcc, exec, s[0:1]
	s_cbranch_vccnz .LBB18_534
; %bb.529:
	s_cmp_gt_i32 s26, 0
	s_cbranch_scc0 .LBB18_531
; %bb.530:
	global_load_sbyte v2, v[0:1], off
	s_mov_b64 s[0:1], 0
	s_waitcnt vmcnt(0)
	v_cvt_f32_i32_e32 v2, v2
	s_branch .LBB18_532
.LBB18_531:
	s_mov_b64 s[0:1], -1
                                        ; implicit-def: $vgpr2
.LBB18_532:
	s_andn2_b64 vcc, exec, s[0:1]
	s_cbranch_vccnz .LBB18_534
; %bb.533:
	global_load_ubyte v0, v[0:1], off
	s_waitcnt vmcnt(0)
	v_cvt_f32_ubyte0_e32 v2, v0
.LBB18_534:
	s_branch .LBB18_278
.LBB18_535:
	s_mov_b64 s[24:25], 0
                                        ; implicit-def: $vgpr8
	s_mov_b64 s[0:1], s[12:13]
.LBB18_536:
	s_andn2_b64 s[20:21], s[12:13], exec
	s_and_b64 s[0:1], s[0:1], exec
	s_or_b64 s[20:21], s[20:21], s[0:1]
	s_andn2_b64 s[0:1], s[14:15], exec
	s_and_b64 s[18:19], s[18:19], exec
	s_or_b64 s[18:19], s[0:1], s[18:19]
	s_orn2_b64 s[0:1], s[24:25], exec
.LBB18_537:
	s_or_b64 exec, exec, s[22:23]
	s_mov_b64 s[24:25], 0
	s_mov_b64 s[26:27], 0
	;; [unrolled: 1-line block ×3, first 2 shown]
                                        ; implicit-def: $vgpr0_vgpr1
                                        ; implicit-def: $vgpr4
	s_and_saveexec_b64 s[22:23], s[0:1]
	s_cbranch_execz .LBB18_894
; %bb.538:
	v_cmp_gt_i32_e32 vcc, s38, v8
	s_mov_b64 s[34:35], -1
	s_mov_b64 s[0:1], s[18:19]
	s_mov_b64 s[28:29], s[20:21]
	s_and_saveexec_b64 s[24:25], vcc
	s_cbranch_execz .LBB18_808
; %bb.539:
	v_mul_lo_u32 v0, v8, s9
	v_ashrrev_i32_e32 v1, 31, v0
	s_and_b32 s34, 0xffff, s42
	s_cmp_lt_i32 s34, 11
	v_lshl_add_u64 v[0:1], s[6:7], 0, v[0:1]
	s_cbranch_scc1 .LBB18_546
; %bb.540:
	s_cmp_gt_i32 s34, 25
	s_cbranch_scc0 .LBB18_547
; %bb.541:
	s_cmp_gt_i32 s34, 28
	s_cbranch_scc0 .LBB18_548
; %bb.542:
	s_cmp_gt_i32 s34, 43
	s_cbranch_scc0 .LBB18_549
; %bb.543:
	s_cmp_gt_i32 s34, 45
	s_cbranch_scc0 .LBB18_552
; %bb.544:
	s_cmp_eq_u32 s34, 46
	s_mov_b64 s[28:29], 0
	s_cbranch_scc0 .LBB18_555
; %bb.545:
	global_load_dword v2, v[0:1], off
	s_mov_b64 s[0:1], -1
	s_waitcnt vmcnt(0)
	v_lshlrev_b32_e32 v2, 16, v2
	s_branch .LBB18_556
.LBB18_546:
	s_mov_b64 s[28:29], -1
	s_mov_b64 s[0:1], 0
                                        ; implicit-def: $vgpr2
	s_mov_b64 s[26:27], s[18:19]
	s_branch .LBB18_621
.LBB18_547:
	s_mov_b64 s[28:29], -1
	s_mov_b64 s[0:1], 0
	s_mov_b64 s[26:27], s[18:19]
                                        ; implicit-def: $vgpr2
	s_branch .LBB18_585
.LBB18_548:
	s_mov_b64 s[28:29], -1
	s_mov_b64 s[0:1], 0
	s_mov_b64 s[26:27], s[18:19]
                                        ; implicit-def: $vgpr2
	s_branch .LBB18_566
.LBB18_549:
	s_mov_b64 s[28:29], -1
	s_mov_b64 s[0:1], 0
	s_mov_b64 s[26:27], s[18:19]
                                        ; implicit-def: $vgpr2
	s_branch .LBB18_561
.LBB18_550:
	s_andn2_saveexec_b64 s[26:27], s[26:27]
	s_cbranch_execz .LBB18_335
.LBB18_551:
	s_mov_b32 s30, 0x46000000
	v_add_f32_e64 v1, |v0|, s30
	v_and_b32_e32 v1, 0xff, v1
	v_cmp_ne_u32_e32 vcc, 0, v1
	s_andn2_b64 s[24:25], s[24:25], exec
	s_and_b64 s[30:31], vcc, exec
	s_or_b64 s[24:25], s[24:25], s[30:31]
	s_or_b64 exec, exec, s[26:27]
	v_mov_b32_e32 v4, 0
	s_and_saveexec_b64 s[26:27], s[24:25]
	s_cbranch_execnz .LBB18_336
	s_branch .LBB18_337
.LBB18_552:
	s_mov_b64 s[28:29], -1
	s_mov_b64 s[0:1], 0
	s_mov_b64 s[26:27], s[18:19]
                                        ; implicit-def: $vgpr2
	s_branch .LBB18_556
.LBB18_553:
	s_andn2_saveexec_b64 s[26:27], s[26:27]
	s_cbranch_execz .LBB18_348
.LBB18_554:
	s_mov_b32 s30, 0x42800000
	v_add_f32_e64 v1, |v0|, s30
	v_and_b32_e32 v1, 0xff, v1
	v_cmp_ne_u32_e32 vcc, 0, v1
	s_andn2_b64 s[24:25], s[24:25], exec
	s_and_b64 s[30:31], vcc, exec
	s_or_b64 s[24:25], s[24:25], s[30:31]
	s_or_b64 exec, exec, s[26:27]
	v_mov_b32_e32 v4, 0
	s_and_saveexec_b64 s[26:27], s[24:25]
	s_cbranch_execnz .LBB18_349
	s_branch .LBB18_350
.LBB18_555:
	s_mov_b64 s[26:27], -1
                                        ; implicit-def: $vgpr2
	s_mov_b64 s[0:1], 0
.LBB18_556:
	s_and_b64 vcc, exec, s[28:29]
	s_cbranch_vccz .LBB18_560
; %bb.557:
	s_cmp_eq_u32 s34, 44
	s_cbranch_scc0 .LBB18_559
; %bb.558:
	global_load_ubyte v2, v[0:1], off
	s_movk_i32 s26, 0xff
	v_mov_b32_e32 v3, 0x7f800001
	v_mov_b32_e32 v4, 0x400000
	s_mov_b64 s[0:1], -1
	s_waitcnt vmcnt(0)
	v_lshlrev_b32_e32 v5, 23, v2
	v_cmp_ne_u32_e32 vcc, s26, v2
	s_mov_b64 s[26:27], 0
	s_nop 0
	v_cndmask_b32_e32 v3, v3, v5, vcc
	v_cmp_ne_u32_e32 vcc, 0, v2
	s_nop 1
	v_cndmask_b32_e32 v2, v4, v3, vcc
	s_branch .LBB18_560
.LBB18_559:
	s_mov_b64 s[26:27], -1
                                        ; implicit-def: $vgpr2
.LBB18_560:
	s_mov_b64 s[28:29], 0
.LBB18_561:
	s_and_b64 vcc, exec, s[28:29]
	s_cbranch_vccz .LBB18_565
; %bb.562:
	s_cmp_eq_u32 s34, 29
	s_cbranch_scc0 .LBB18_564
; %bb.563:
	global_load_dwordx2 v[2:3], v[0:1], off
	s_mov_b64 s[0:1], -1
	s_mov_b64 s[26:27], 0
	s_mov_b64 s[28:29], 0
	s_waitcnt vmcnt(0)
	v_ffbh_u32_e32 v4, v3
	v_min_u32_e32 v4, 32, v4
	v_lshlrev_b64 v[2:3], v4, v[2:3]
	v_min_u32_e32 v2, 1, v2
	v_or_b32_e32 v2, v3, v2
	v_cvt_f32_u32_e32 v2, v2
	v_sub_u32_e32 v3, 32, v4
	v_ldexp_f32 v2, v2, v3
	s_branch .LBB18_566
.LBB18_564:
	s_mov_b64 s[26:27], -1
                                        ; implicit-def: $vgpr2
.LBB18_565:
	s_mov_b64 s[28:29], 0
.LBB18_566:
	s_and_b64 vcc, exec, s[28:29]
	s_cbranch_vccz .LBB18_584
; %bb.567:
	s_cmp_lt_i32 s34, 27
	s_cbranch_scc1 .LBB18_570
; %bb.568:
	s_cmp_gt_i32 s34, 27
	s_cbranch_scc0 .LBB18_571
; %bb.569:
	global_load_dword v2, v[0:1], off
	s_mov_b64 s[0:1], 0
	s_waitcnt vmcnt(0)
	v_cvt_f32_u32_e32 v2, v2
	s_branch .LBB18_572
.LBB18_570:
	s_mov_b64 s[0:1], -1
                                        ; implicit-def: $vgpr2
	s_branch .LBB18_575
.LBB18_571:
	s_mov_b64 s[0:1], -1
                                        ; implicit-def: $vgpr2
.LBB18_572:
	s_andn2_b64 vcc, exec, s[0:1]
	s_cbranch_vccnz .LBB18_574
; %bb.573:
	global_load_ushort v2, v[0:1], off
	s_waitcnt vmcnt(0)
	v_cvt_f32_u32_e32 v2, v2
.LBB18_574:
	s_mov_b64 s[0:1], 0
.LBB18_575:
	s_andn2_b64 vcc, exec, s[0:1]
	s_cbranch_vccnz .LBB18_583
; %bb.576:
	global_load_ubyte v3, v[0:1], off
	s_movk_i32 s0, 0x7f
	s_waitcnt vmcnt(0)
	v_cmp_lt_i16_e32 vcc, s0, v3
	s_mov_b64 s[0:1], 0
	s_and_saveexec_b64 s[28:29], vcc
	s_xor_b64 s[28:29], exec, s[28:29]
	s_cbranch_execz .LBB18_597
; %bb.577:
	s_movk_i32 s0, 0x80
	v_cmp_eq_u16_e32 vcc, s0, v3
	s_mov_b64 s[0:1], -1
	s_and_saveexec_b64 s[30:31], vcc
; %bb.578:
	s_xor_b64 s[0:1], exec, -1
; %bb.579:
	s_or_b64 exec, exec, s[30:31]
	s_and_b64 s[0:1], s[0:1], exec
	s_or_saveexec_b64 s[28:29], s[28:29]
	v_mov_b32_e32 v2, 0x7f800001
	s_xor_b64 exec, exec, s[28:29]
	s_cbranch_execnz .LBB18_598
.LBB18_580:
	s_or_b64 exec, exec, s[28:29]
	s_and_saveexec_b64 s[28:29], s[0:1]
	s_cbranch_execz .LBB18_582
.LBB18_581:
	v_lshlrev_b32_e32 v2, 24, v3
	v_and_b32_e32 v3, 0xffff, v3
	v_and_b32_e32 v4, 7, v3
	v_ffbh_u32_e32 v6, v4
	v_min_u32_e32 v6, 32, v6
	v_subrev_u32_e32 v7, 28, v6
	v_bfe_u32 v5, v3, 3, 4
	v_lshlrev_b32_e32 v3, v7, v3
	v_sub_u32_e32 v6, 29, v6
	v_and_b32_e32 v3, 7, v3
	v_cmp_eq_u32_e32 vcc, 0, v5
	v_and_b32_e32 v2, 0x80000000, v2
	s_nop 0
	v_cndmask_b32_e32 v5, v5, v6, vcc
	v_cndmask_b32_e32 v3, v4, v3, vcc
	v_mov_b32_e32 v4, 0x3b800000
	v_lshlrev_b32_e32 v3, 20, v3
	v_lshl_add_u32 v4, v5, 23, v4
	v_or3_b32 v2, v2, v4, v3
.LBB18_582:
	s_or_b64 exec, exec, s[28:29]
.LBB18_583:
	s_mov_b64 s[0:1], -1
.LBB18_584:
	s_mov_b64 s[28:29], 0
.LBB18_585:
	s_and_b64 vcc, exec, s[28:29]
	s_cbranch_vccz .LBB18_620
; %bb.586:
	s_cmp_gt_i32 s34, 22
	s_cbranch_scc0 .LBB18_596
; %bb.587:
	s_cmp_lt_i32 s34, 24
	s_cbranch_scc1 .LBB18_599
; %bb.588:
	s_cmp_gt_i32 s34, 24
	s_cbranch_scc0 .LBB18_600
; %bb.589:
	global_load_ubyte v3, v[0:1], off
	s_movk_i32 s0, 0x7f
	s_waitcnt vmcnt(0)
	v_cmp_lt_i16_e32 vcc, s0, v3
	s_mov_b64 s[0:1], 0
	s_and_saveexec_b64 s[28:29], vcc
	s_xor_b64 s[28:29], exec, s[28:29]
	s_cbranch_execz .LBB18_612
; %bb.590:
	s_movk_i32 s0, 0x80
	v_cmp_eq_u16_e32 vcc, s0, v3
	s_mov_b64 s[0:1], -1
	s_and_saveexec_b64 s[30:31], vcc
; %bb.591:
	s_xor_b64 s[0:1], exec, -1
; %bb.592:
	s_or_b64 exec, exec, s[30:31]
	s_and_b64 s[0:1], s[0:1], exec
	s_or_saveexec_b64 s[28:29], s[28:29]
	v_mov_b32_e32 v2, 0x7f800001
	s_xor_b64 exec, exec, s[28:29]
	s_cbranch_execnz .LBB18_613
.LBB18_593:
	s_or_b64 exec, exec, s[28:29]
	s_and_saveexec_b64 s[28:29], s[0:1]
	s_cbranch_execz .LBB18_595
.LBB18_594:
	v_lshlrev_b32_e32 v2, 24, v3
	v_and_b32_e32 v3, 0xffff, v3
	v_and_b32_e32 v4, 3, v3
	v_ffbh_u32_e32 v6, v4
	v_min_u32_e32 v6, 32, v6
	v_subrev_u32_e32 v7, 29, v6
	v_bfe_u32 v5, v3, 2, 5
	v_lshlrev_b32_e32 v3, v7, v3
	v_sub_u32_e32 v6, 30, v6
	v_and_b32_e32 v3, 3, v3
	v_cmp_eq_u32_e32 vcc, 0, v5
	v_and_b32_e32 v2, 0x80000000, v2
	s_nop 0
	v_cndmask_b32_e32 v5, v5, v6, vcc
	v_cndmask_b32_e32 v3, v4, v3, vcc
	v_mov_b32_e32 v4, 0x37800000
	v_lshlrev_b32_e32 v3, 21, v3
	v_lshl_add_u32 v4, v5, 23, v4
	v_or3_b32 v2, v2, v4, v3
.LBB18_595:
	s_or_b64 exec, exec, s[28:29]
	s_mov_b64 s[0:1], 0
	s_branch .LBB18_601
.LBB18_596:
	s_mov_b64 s[28:29], -1
                                        ; implicit-def: $vgpr2
	s_branch .LBB18_607
.LBB18_597:
	s_or_saveexec_b64 s[28:29], s[28:29]
	v_mov_b32_e32 v2, 0x7f800001
	s_xor_b64 exec, exec, s[28:29]
	s_cbranch_execz .LBB18_580
.LBB18_598:
	v_cmp_ne_u16_e32 vcc, 0, v3
	s_andn2_b64 s[0:1], s[0:1], exec
	s_and_b64 s[30:31], vcc, exec
	v_mov_b32_e32 v2, 0
	s_or_b64 s[0:1], s[0:1], s[30:31]
	s_or_b64 exec, exec, s[28:29]
	s_and_saveexec_b64 s[28:29], s[0:1]
	s_cbranch_execnz .LBB18_581
	s_branch .LBB18_582
.LBB18_599:
	s_mov_b64 s[0:1], -1
                                        ; implicit-def: $vgpr2
	s_branch .LBB18_604
.LBB18_600:
	s_mov_b64 s[0:1], -1
                                        ; implicit-def: $vgpr2
.LBB18_601:
	s_and_b64 vcc, exec, s[0:1]
	s_cbranch_vccz .LBB18_603
; %bb.602:
	global_load_ubyte v2, v[0:1], off
	s_mov_b32 s0, 0x7f800000
	s_waitcnt vmcnt(0)
	v_lshlrev_b32_e32 v2, 24, v2
	v_and_b32_e32 v3, 0x7f000000, v2
	v_ffbh_u32_e32 v4, v3
	v_min_u32_e32 v4, 32, v4
	v_sub_u32_e64 v4, v4, 4 clamp
	v_lshlrev_b32_e32 v6, v4, v3
	v_lshlrev_b32_e32 v4, 23, v4
	v_lshrrev_b32_e32 v6, 4, v6
	v_add_u32_e32 v5, 0x1000000, v3
	v_sub_u32_e32 v4, v6, v4
	v_ashrrev_i32_e32 v5, 8, v5
	v_add_u32_e32 v4, 0x3c000000, v4
	v_and_or_b32 v4, v5, s0, v4
	v_cmp_ne_u32_e32 vcc, 0, v3
	s_brev_b32 s0, 1
	s_nop 0
	v_cndmask_b32_e32 v3, 0, v4, vcc
	v_and_or_b32 v2, v2, s0, v3
.LBB18_603:
	s_mov_b64 s[0:1], 0
.LBB18_604:
	s_andn2_b64 vcc, exec, s[0:1]
	s_cbranch_vccnz .LBB18_606
; %bb.605:
	global_load_ubyte v2, v[0:1], off
	s_movk_i32 s0, 0x7f00
	s_brev_b32 s1, 16
	s_waitcnt vmcnt(0)
	v_lshlrev_b16_e32 v3, 8, v2
	v_lshlrev_b32_e32 v2, 25, v2
	v_lshrrev_b32_e32 v4, 4, v2
	v_and_or_b32 v5, v3, s0, 0.5
	v_or_b32_e32 v4, 0x70000000, v4
	v_add_f32_e32 v5, -0.5, v5
	v_mul_f32_e32 v4, 0x7800000, v4
	v_cmp_gt_u32_e32 vcc, s1, v2
	v_bfe_i32 v3, v3, 0, 16
	s_brev_b32 s0, 1
	v_cndmask_b32_e32 v2, v4, v5, vcc
	v_and_or_b32 v2, v3, s0, v2
.LBB18_606:
	s_mov_b64 s[28:29], 0
	s_mov_b64 s[0:1], -1
.LBB18_607:
	s_andn2_b64 vcc, exec, s[28:29]
	s_cbranch_vccnz .LBB18_620
; %bb.608:
	s_cmp_gt_i32 s34, 14
	s_cbranch_scc0 .LBB18_611
; %bb.609:
	s_cmp_eq_u32 s34, 15
	s_cbranch_scc0 .LBB18_614
; %bb.610:
	global_load_ushort v2, v[0:1], off
	s_mov_b64 s[0:1], -1
	s_mov_b64 s[26:27], 0
	s_waitcnt vmcnt(0)
	v_lshlrev_b32_e32 v2, 16, v2
	s_branch .LBB18_615
.LBB18_611:
	s_mov_b64 s[28:29], -1
                                        ; implicit-def: $vgpr2
	s_branch .LBB18_616
.LBB18_612:
	s_or_saveexec_b64 s[28:29], s[28:29]
	v_mov_b32_e32 v2, 0x7f800001
	s_xor_b64 exec, exec, s[28:29]
	s_cbranch_execz .LBB18_593
.LBB18_613:
	v_cmp_ne_u16_e32 vcc, 0, v3
	s_andn2_b64 s[0:1], s[0:1], exec
	s_and_b64 s[30:31], vcc, exec
	v_mov_b32_e32 v2, 0
	s_or_b64 s[0:1], s[0:1], s[30:31]
	s_or_b64 exec, exec, s[28:29]
	s_and_saveexec_b64 s[28:29], s[0:1]
	s_cbranch_execnz .LBB18_594
	s_branch .LBB18_595
.LBB18_614:
	s_mov_b64 s[26:27], -1
                                        ; implicit-def: $vgpr2
.LBB18_615:
	s_mov_b64 s[28:29], 0
.LBB18_616:
	s_and_b64 vcc, exec, s[28:29]
	s_cbranch_vccz .LBB18_620
; %bb.617:
	s_cmp_eq_u32 s34, 11
	s_cbranch_scc0 .LBB18_619
; %bb.618:
	global_load_ubyte v2, v[0:1], off
	s_mov_b64 s[0:1], -1
	s_mov_b64 s[26:27], 0
	s_waitcnt vmcnt(0)
	v_cmp_ne_u16_e32 vcc, 0, v2
	s_nop 1
	v_cndmask_b32_e64 v2, 0, 1.0, vcc
	s_branch .LBB18_620
.LBB18_619:
	s_mov_b64 s[26:27], -1
                                        ; implicit-def: $vgpr2
.LBB18_620:
	s_mov_b64 s[28:29], 0
.LBB18_621:
	s_and_b64 vcc, exec, s[28:29]
	s_cbranch_vccz .LBB18_670
; %bb.622:
	s_cmp_lt_i32 s34, 5
	s_cbranch_scc1 .LBB18_627
; %bb.623:
	s_cmp_lt_i32 s34, 8
	s_cbranch_scc1 .LBB18_628
; %bb.624:
	s_cmp_lt_i32 s34, 9
	s_cbranch_scc1 .LBB18_629
; %bb.625:
	s_cmp_gt_i32 s34, 9
	s_cbranch_scc0 .LBB18_630
; %bb.626:
	global_load_dwordx2 v[2:3], v[0:1], off
	s_mov_b64 s[0:1], 0
	s_waitcnt vmcnt(0)
	v_cvt_f32_f64_e32 v2, v[2:3]
	s_branch .LBB18_631
.LBB18_627:
	s_mov_b64 s[0:1], -1
                                        ; implicit-def: $vgpr2
	s_branch .LBB18_649
.LBB18_628:
	s_mov_b64 s[0:1], -1
                                        ; implicit-def: $vgpr2
	s_branch .LBB18_637
.LBB18_629:
	s_mov_b64 s[0:1], -1
                                        ; implicit-def: $vgpr2
	s_branch .LBB18_634
.LBB18_630:
	s_mov_b64 s[0:1], -1
                                        ; implicit-def: $vgpr2
.LBB18_631:
	s_andn2_b64 vcc, exec, s[0:1]
	s_cbranch_vccnz .LBB18_633
; %bb.632:
	global_load_dword v2, v[0:1], off
.LBB18_633:
	s_mov_b64 s[0:1], 0
.LBB18_634:
	s_andn2_b64 vcc, exec, s[0:1]
	s_cbranch_vccnz .LBB18_636
; %bb.635:
	global_load_dword v2, v[0:1], off
	s_waitcnt vmcnt(0)
	v_cvt_f32_f16_e32 v2, v2
.LBB18_636:
	s_mov_b64 s[0:1], 0
.LBB18_637:
	s_andn2_b64 vcc, exec, s[0:1]
	s_cbranch_vccnz .LBB18_648
; %bb.638:
	s_cmp_lt_i32 s34, 6
	s_cbranch_scc1 .LBB18_641
; %bb.639:
	s_cmp_gt_i32 s34, 6
	s_cbranch_scc0 .LBB18_642
; %bb.640:
	global_load_dwordx2 v[2:3], v[0:1], off
	s_mov_b64 s[0:1], 0
	s_waitcnt vmcnt(0)
	v_cvt_f32_f64_e32 v2, v[2:3]
	s_branch .LBB18_643
.LBB18_641:
	s_mov_b64 s[0:1], -1
                                        ; implicit-def: $vgpr2
	s_branch .LBB18_646
.LBB18_642:
	s_mov_b64 s[0:1], -1
                                        ; implicit-def: $vgpr2
.LBB18_643:
	s_andn2_b64 vcc, exec, s[0:1]
	s_cbranch_vccnz .LBB18_645
; %bb.644:
	global_load_dword v2, v[0:1], off
.LBB18_645:
	s_mov_b64 s[0:1], 0
.LBB18_646:
	s_andn2_b64 vcc, exec, s[0:1]
	s_cbranch_vccnz .LBB18_648
; %bb.647:
	global_load_ushort v2, v[0:1], off
	s_waitcnt vmcnt(0)
	v_cvt_f32_f16_e32 v2, v2
.LBB18_648:
	s_mov_b64 s[0:1], 0
.LBB18_649:
	s_andn2_b64 vcc, exec, s[0:1]
	s_cbranch_vccnz .LBB18_669
; %bb.650:
	s_cmp_lt_i32 s34, 2
	s_cbranch_scc1 .LBB18_654
; %bb.651:
	s_cmp_lt_i32 s34, 3
	s_cbranch_scc1 .LBB18_655
; %bb.652:
	s_cmp_gt_i32 s34, 3
	s_cbranch_scc0 .LBB18_656
; %bb.653:
	global_load_dwordx2 v[2:3], v[0:1], off
	s_mov_b64 s[0:1], 0
	s_waitcnt vmcnt(0)
	v_xor_b32_e32 v5, v2, v3
	v_ffbh_i32_e32 v4, v3
	v_ashrrev_i32_e32 v5, 31, v5
	v_add_u32_e32 v4, -1, v4
	v_add_u32_e32 v5, 32, v5
	v_min_u32_e32 v4, v4, v5
	v_lshlrev_b64 v[2:3], v4, v[2:3]
	v_min_u32_e32 v2, 1, v2
	v_or_b32_e32 v2, v3, v2
	v_cvt_f32_i32_e32 v2, v2
	v_sub_u32_e32 v3, 32, v4
	v_ldexp_f32 v2, v2, v3
	s_branch .LBB18_657
.LBB18_654:
	s_mov_b64 s[0:1], -1
                                        ; implicit-def: $vgpr2
	s_branch .LBB18_663
.LBB18_655:
	s_mov_b64 s[0:1], -1
                                        ; implicit-def: $vgpr2
	s_branch .LBB18_660
.LBB18_656:
	s_mov_b64 s[0:1], -1
                                        ; implicit-def: $vgpr2
.LBB18_657:
	s_andn2_b64 vcc, exec, s[0:1]
	s_cbranch_vccnz .LBB18_659
; %bb.658:
	global_load_dword v2, v[0:1], off
	s_waitcnt vmcnt(0)
	v_cvt_f32_i32_e32 v2, v2
.LBB18_659:
	s_mov_b64 s[0:1], 0
.LBB18_660:
	s_andn2_b64 vcc, exec, s[0:1]
	s_cbranch_vccnz .LBB18_662
; %bb.661:
	global_load_sshort v2, v[0:1], off
	s_waitcnt vmcnt(0)
	v_cvt_f32_i32_e32 v2, v2
.LBB18_662:
	s_mov_b64 s[0:1], 0
.LBB18_663:
	s_andn2_b64 vcc, exec, s[0:1]
	s_cbranch_vccnz .LBB18_669
; %bb.664:
	s_cmp_gt_i32 s34, 0
	s_cbranch_scc0 .LBB18_666
; %bb.665:
	global_load_sbyte v2, v[0:1], off
	s_mov_b64 s[0:1], 0
	s_waitcnt vmcnt(0)
	v_cvt_f32_i32_e32 v2, v2
	s_branch .LBB18_667
.LBB18_666:
	s_mov_b64 s[0:1], -1
                                        ; implicit-def: $vgpr2
.LBB18_667:
	s_andn2_b64 vcc, exec, s[0:1]
	s_cbranch_vccnz .LBB18_669
; %bb.668:
	global_load_ubyte v0, v[0:1], off
	s_waitcnt vmcnt(0)
	v_cvt_f32_ubyte0_e32 v2, v0
.LBB18_669:
	s_mov_b64 s[0:1], -1
.LBB18_670:
	s_andn2_b64 vcc, exec, s[0:1]
	s_cbranch_vccnz .LBB18_690
; %bb.671:
	s_mov_b32 s0, 0x41000000
	s_waitcnt vmcnt(0)
	v_cmp_le_f32_e64 s[0:1], |v2|, s0
                                        ; implicit-def: $vgpr0
	s_and_saveexec_b64 s[28:29], s[0:1]
	s_xor_b64 s[28:29], exec, s[28:29]
	s_cbranch_execz .LBB18_677
; %bb.672:
	v_fma_f32 v0, |v2|, 0.5, -2.0
	v_mov_b32_e32 v1, 0xa3c2be86
	v_fmac_f32_e32 v1, 0x224cf950, v0
	v_fmaak_f32 v3, v0, v1, 0xa24cf950
	v_add_f32_e32 v3, 0x25331f1f, v3
	v_fma_f32 v1, v0, v3, -v1
	v_add_f32_e32 v1, 0xa69f5554, v1
	v_fma_f32 v3, v0, v1, -v3
	;; [unrolled: 2-line block ×25, first 2 shown]
	v_add_f32_e32 v1, 0xbe34a688, v1
	s_mov_b32 s0, 0x3fb8aa3b
	v_fma_f32 v0, v0, v1, -v3
	v_mul_f32_e64 v1, |v2|, s0
	v_rndne_f32_e32 v4, v1
	v_sub_f32_e32 v5, v1, v4
	v_fma_f32 v1, |v2|, s0, -v1
	s_mov_b32 s0, 0x32a5705f
	v_fma_f32 v1, |v2|, s0, v1
	v_add_f32_e32 v1, v5, v1
	v_exp_f32_e32 v5, v1
	v_cvt_i32_f32_e32 v4, v4
	v_add_f32_e32 v0, 0x3e81531c, v0
	v_sub_f32_e32 v0, v0, v3
	v_mul_f32_e32 v0, 0.5, v0
	s_mov_b32 s0, 0xc2ce8ed0
	v_mul_f32_e64 v1, |v2|, v0
	v_ldexp_f32 v0, v5, v4
	v_cmp_nlt_f32_e64 s[0:1], |v2|, s0
	v_mov_b32_e32 v3, 0x7f800000
	v_cmp_ngt_f32_e32 vcc, 0, v2
	v_cndmask_b32_e64 v0, 0, v0, s[0:1]
	s_mov_b32 s0, 0x42b17218
	v_cmp_ngt_f32_e64 s[0:1], |v2|, s0
	s_nop 1
	v_cndmask_b32_e64 v2, v3, v0, s[0:1]
                                        ; implicit-def: $vgpr0
	s_and_saveexec_b64 s[0:1], vcc
	s_xor_b64 s[0:1], exec, s[0:1]
; %bb.673:
	v_mul_f32_e32 v0, v2, v1
                                        ; implicit-def: $vgpr2
                                        ; implicit-def: $vgpr1
; %bb.674:
	s_andn2_saveexec_b64 s[0:1], s[0:1]
; %bb.675:
	v_mul_f32_e64 v0, v1, -v2
; %bb.676:
	s_or_b64 exec, exec, s[0:1]
                                        ; implicit-def: $vgpr2
.LBB18_677:
	s_andn2_saveexec_b64 s[28:29], s[28:29]
	s_cbranch_execz .LBB18_683
; %bb.678:
	v_and_b32_e32 v0, 0x7fffffff, v2
	s_mov_b32 s30, 0x42000000
	v_div_scale_f32 v1, s[0:1], v0, v0, s30
	v_rcp_f32_e32 v3, v1
	v_div_scale_f32 v0, vcc, s30, v0, s30
	s_mov_b32 s0, 0x3fb8aa3b
	v_fma_f32 v4, -v1, v3, 1.0
	v_fmac_f32_e32 v3, v4, v3
	v_mul_f32_e32 v4, v0, v3
	v_fma_f32 v5, -v1, v4, v0
	v_fmac_f32_e32 v4, v5, v3
	v_fma_f32 v0, -v1, v4, v0
	v_div_fmas_f32 v0, v0, v3, v4
	v_div_fixup_f32 v0, v0, |v2|, s30
	v_add_f32_e32 v0, -2.0, v0
	v_mov_b32_e32 v1, 0x22a2dc57
	v_fmac_f32_e32 v1, 0x230aab6e, v0
	v_fmaak_f32 v3, v0, v1, 0xa30aab6e
	v_add_f32_e32 v3, 0xa456751e, v3
	v_fma_f32 v1, v0, v3, -v1
	v_add_f32_e32 v1, 0xa4140365, v1
	v_fma_f32 v3, v0, v1, -v3
	;; [unrolled: 2-line block ×17, first 2 shown]
	v_add_f32_e32 v1, 0xb2e20a9d, v1
	v_mul_f32_e64 v4, |v2|, s0
	v_fma_f32 v3, v0, v1, -v3
	v_rndne_f32_e32 v5, v4
	v_add_f32_e32 v3, 0xb486dfe9, v3
	v_sub_f32_e32 v6, v4, v5
	v_fma_f32 v4, |v2|, s0, -v4
	s_mov_b32 s0, 0x32a5705f
	v_fma_f32 v1, v0, v3, -v1
	v_fma_f32 v4, |v2|, s0, v4
	v_add_f32_e32 v1, 0xb68246fa, v1
	v_add_f32_e32 v4, v6, v4
	v_fma_f32 v3, v0, v1, -v3
	v_exp_f32_e32 v4, v4
	v_cvt_i32_f32_e32 v5, v5
	v_add_f32_e32 v3, 0xb8e7ebfc, v3
	v_fma_f32 v1, v0, v3, -v1
	v_add_f32_e32 v1, 0xbc1fed03, v1
	s_mov_b32 s0, 0xc2ce8ed0
	v_fma_f32 v0, v0, v1, -v3
	v_ldexp_f32 v1, v4, v5
	v_cmp_nlt_f32_e64 s[0:1], |v2|, s0
	v_add_f32_e32 v0, 0x3f4750c6, v0
	v_mov_b32_e32 v4, 0x7f800000
	v_cndmask_b32_e64 v1, 0, v1, s[0:1]
	s_mov_b32 s0, 0x42b17218
	v_cmp_ngt_f32_e64 s[0:1], |v2|, s0
	v_cmp_ngt_f32_e32 vcc, 0, v2
	v_sub_f32_e32 v3, v0, v3
	v_cndmask_b32_e64 v1, v4, v1, s[0:1]
                                        ; implicit-def: $vgpr0
	s_and_saveexec_b64 s[0:1], vcc
	s_xor_b64 s[30:31], exec, s[0:1]
	s_cbranch_execz .LBB18_680
; %bb.679:
	s_mov_b32 s0, 0xf800000
	s_mov_b32 s1, 0x4f800000
	v_mul_f32_e64 v0, |v2|, s1
	v_cmp_lt_f32_e64 vcc, |v2|, s0
	v_mul_f32_e32 v3, 0.5, v3
	v_mul_f32_e32 v1, v1, v3
	v_cndmask_b32_e64 v0, |v2|, v0, vcc
	v_sqrt_f32_e32 v2, v0
	s_nop 0
	v_add_u32_e32 v3, -1, v2
	v_fma_f32 v4, -v3, v2, v0
	v_cmp_ge_f32_e64 s[0:1], 0, v4
	v_add_u32_e32 v4, 1, v2
	s_nop 0
	v_cndmask_b32_e64 v3, v2, v3, s[0:1]
	v_fma_f32 v2, -v4, v2, v0
	v_cmp_lt_f32_e64 s[0:1], 0, v2
	s_nop 1
	v_cndmask_b32_e64 v2, v3, v4, s[0:1]
	v_mul_f32_e32 v3, 0x37800000, v2
	v_cndmask_b32_e32 v2, v2, v3, vcc
	v_mov_b32_e32 v3, 0x260
	v_cmp_class_f32_e32 vcc, v0, v3
	s_nop 1
	v_cndmask_b32_e32 v0, v2, v0, vcc
	v_div_scale_f32 v2, s[0:1], v0, v0, v1
	v_rcp_f32_e32 v3, v2
	s_nop 0
	v_fma_f32 v4, -v2, v3, 1.0
	v_fmac_f32_e32 v3, v4, v3
	v_div_scale_f32 v4, vcc, v1, v0, v1
	v_mul_f32_e32 v5, v4, v3
	v_fma_f32 v6, -v2, v5, v4
	v_fmac_f32_e32 v5, v6, v3
	v_fma_f32 v2, -v2, v5, v4
	v_div_fmas_f32 v2, v2, v3, v5
	v_div_fixup_f32 v0, v2, v0, v1
                                        ; implicit-def: $vgpr2
                                        ; implicit-def: $vgpr3
                                        ; implicit-def: $vgpr1
.LBB18_680:
	s_andn2_saveexec_b64 s[30:31], s[30:31]
	s_cbranch_execz .LBB18_682
; %bb.681:
	s_mov_b32 s0, 0xf800000
	s_mov_b32 s1, 0x4f800000
	v_mul_f32_e64 v0, |v2|, s1
	v_cmp_lt_f32_e64 vcc, |v2|, s0
	s_nop 1
	v_cndmask_b32_e64 v0, |v2|, v0, vcc
	v_sqrt_f32_e32 v2, v0
	s_nop 0
	v_add_u32_e32 v4, -1, v2
	v_fma_f32 v5, -v4, v2, v0
	v_cmp_ge_f32_e64 s[0:1], 0, v5
	v_add_u32_e32 v5, 1, v2
	s_nop 0
	v_cndmask_b32_e64 v4, v2, v4, s[0:1]
	v_fma_f32 v2, -v5, v2, v0
	v_cmp_lt_f32_e64 s[0:1], 0, v2
	s_nop 1
	v_cndmask_b32_e64 v2, v4, v5, s[0:1]
	v_mul_f32_e32 v4, 0x37800000, v2
	v_cndmask_b32_e32 v2, v2, v4, vcc
	v_mov_b32_e32 v4, 0x260
	v_cmp_class_f32_e32 vcc, v0, v4
	s_nop 1
	v_cndmask_b32_e32 v0, v2, v0, vcc
	v_mul_f32_e32 v2, -0.5, v3
	v_mul_f32_e32 v1, v1, v2
	v_div_scale_f32 v2, s[0:1], v0, v0, v1
	v_rcp_f32_e32 v3, v2
	s_nop 0
	v_fma_f32 v4, -v2, v3, 1.0
	v_fmac_f32_e32 v3, v4, v3
	v_div_scale_f32 v4, vcc, v1, v0, v1
	v_mul_f32_e32 v5, v4, v3
	v_fma_f32 v6, -v2, v5, v4
	v_fmac_f32_e32 v5, v6, v3
	v_fma_f32 v2, -v2, v5, v4
	v_div_fmas_f32 v2, v2, v3, v5
	v_div_fixup_f32 v0, v2, v0, v1
.LBB18_682:
	s_or_b64 exec, exec, s[30:31]
.LBB18_683:
	s_or_b64 exec, exec, s[28:29]
	v_mul_lo_u32 v2, v8, s8
	v_ashrrev_i32_e32 v3, 31, v2
	s_and_b32 s36, s33, 0xff
	s_cmp_lt_i32 s36, 11
	v_lshl_add_u64 v[2:3], s[4:5], 0, v[2:3]
	s_cbranch_scc1 .LBB18_691
; %bb.684:
	s_and_b32 s37, 0xffff, s36
	s_cmp_gt_i32 s37, 25
	s_cbranch_scc0 .LBB18_692
; %bb.685:
	s_cmp_gt_i32 s37, 28
	s_cbranch_scc0 .LBB18_693
; %bb.686:
	;; [unrolled: 3-line block ×4, first 2 shown]
	s_mov_b64 s[30:31], 0
	s_mov_b64 s[0:1], -1
	s_cmp_eq_u32 s37, 46
	s_mov_b64 s[28:29], 0
	s_cbranch_scc0 .LBB18_696
; %bb.689:
	v_bfe_u32 v1, v0, 16, 1
	s_movk_i32 s0, 0x7fff
	v_add3_u32 v1, v0, v1, s0
	v_cmp_o_f32_e32 vcc, v0, v0
	v_mov_b32_e32 v4, 0x7fc0
	s_mov_b64 s[28:29], -1
	v_cndmask_b32_sdwa v1, v4, v1, vcc dst_sel:DWORD dst_unused:UNUSED_PAD src0_sel:DWORD src1_sel:WORD_1
	global_store_dword v[2:3], v1, off
	s_mov_b64 s[0:1], 0
	s_branch .LBB18_696
.LBB18_690:
	s_mov_b64 s[30:31], 0
                                        ; implicit-def: $vgpr8
	s_mov_b64 s[0:1], s[20:21]
	s_branch .LBB18_807
.LBB18_691:
	s_mov_b64 s[30:31], -1
	s_mov_b64 s[28:29], 0
	s_mov_b64 s[0:1], s[20:21]
	s_branch .LBB18_765
.LBB18_692:
	s_mov_b64 s[30:31], -1
	s_mov_b64 s[28:29], 0
	s_mov_b64 s[0:1], s[20:21]
	s_branch .LBB18_723
.LBB18_693:
	s_mov_b64 s[30:31], -1
	s_mov_b64 s[28:29], 0
	s_mov_b64 s[0:1], s[20:21]
	s_branch .LBB18_706
.LBB18_694:
	s_mov_b64 s[30:31], -1
	s_mov_b64 s[28:29], 0
	s_mov_b64 s[0:1], s[20:21]
	s_branch .LBB18_702
.LBB18_695:
	s_mov_b64 s[30:31], -1
	s_mov_b64 s[28:29], 0
	s_mov_b64 s[0:1], s[20:21]
.LBB18_696:
	s_and_b64 vcc, exec, s[30:31]
	s_cbranch_vccz .LBB18_701
; %bb.697:
	s_cmp_eq_u32 s37, 44
	s_mov_b64 s[0:1], -1
	s_cbranch_scc0 .LBB18_701
; %bb.698:
	v_bfe_u32 v1, v0, 23, 8
	s_movk_i32 s0, 0xff
	v_cmp_ne_u32_e32 vcc, s0, v1
	v_mov_b32_e32 v4, 0xff
	s_and_saveexec_b64 s[28:29], vcc
; %bb.699:
	s_mov_b32 s0, 0x3fffff
	v_and_b32_e32 v5, 0x400000, v0
	v_and_or_b32 v1, v0, s0, v1
	v_cmp_ne_u32_e32 vcc, 0, v5
	v_cmp_ne_u32_e64 s[0:1], 0, v1
	s_and_b64 s[0:1], vcc, s[0:1]
	v_lshrrev_b32_e32 v4, 23, v0
	v_cndmask_b32_e64 v1, 0, 1, s[0:1]
	v_add_u32_e32 v4, v4, v1
; %bb.700:
	s_or_b64 exec, exec, s[28:29]
	s_mov_b64 s[28:29], -1
	s_mov_b64 s[0:1], 0
	global_store_byte v[2:3], v4, off
.LBB18_701:
	s_mov_b64 s[30:31], 0
.LBB18_702:
	s_and_b64 vcc, exec, s[30:31]
	s_cbranch_vccz .LBB18_705
; %bb.703:
	s_cmp_eq_u32 s37, 29
	s_mov_b64 s[0:1], -1
	s_cbranch_scc0 .LBB18_705
; %bb.704:
	v_trunc_f32_e32 v1, v0
	v_mul_f32_e32 v4, 0x2f800000, v1
	v_floor_f32_e32 v4, v4
	v_fmamk_f32 v1, v4, 0xcf800000, v1
	v_cvt_u32_f32_e32 v5, v4
	v_cvt_u32_f32_e32 v4, v1
	s_mov_b64 s[28:29], -1
	s_mov_b64 s[0:1], 0
	s_mov_b64 s[30:31], 0
	global_store_dwordx2 v[2:3], v[4:5], off
	s_branch .LBB18_706
.LBB18_705:
	s_mov_b64 s[30:31], 0
.LBB18_706:
	s_and_b64 vcc, exec, s[30:31]
	s_cbranch_vccz .LBB18_722
; %bb.707:
	s_cmp_lt_i32 s37, 27
	s_mov_b64 s[28:29], -1
	s_cbranch_scc1 .LBB18_713
; %bb.708:
	v_cvt_u32_f32_e32 v1, v0
	s_cmp_gt_i32 s37, 27
	s_cbranch_scc0 .LBB18_710
; %bb.709:
	s_mov_b64 s[28:29], 0
	global_store_dword v[2:3], v1, off
.LBB18_710:
	s_andn2_b64 vcc, exec, s[28:29]
	s_cbranch_vccnz .LBB18_712
; %bb.711:
	global_store_short v[2:3], v1, off
.LBB18_712:
	s_mov_b64 s[28:29], 0
.LBB18_713:
	s_andn2_b64 vcc, exec, s[28:29]
	s_cbranch_vccnz .LBB18_721
; %bb.714:
	v_and_b32_e32 v1, 0x7fffffff, v0
	s_mov_b32 s28, 0x43800000
	v_cmp_gt_u32_e32 vcc, s28, v1
	v_mov_b32_e32 v4, 0x80
	s_and_saveexec_b64 s[28:29], vcc
	s_cbranch_execz .LBB18_720
; %bb.715:
	s_mov_b32 s30, 0x3bffffff
	v_cmp_lt_u32_e32 vcc, s30, v1
	s_mov_b64 s[30:31], 0
                                        ; implicit-def: $vgpr1
	s_and_saveexec_b64 s[34:35], vcc
	s_xor_b64 s[34:35], exec, s[34:35]
	s_cbranch_execz .LBB18_821
; %bb.716:
	v_bfe_u32 v1, v0, 20, 1
	s_mov_b32 s39, 0x487ffff
	v_add3_u32 v1, v0, v1, s39
	s_mov_b64 s[30:31], exec
	v_lshrrev_b32_e32 v1, 20, v1
	s_andn2_saveexec_b64 s[34:35], s[34:35]
	s_cbranch_execnz .LBB18_822
.LBB18_717:
	s_or_b64 exec, exec, s[34:35]
	v_mov_b32_e32 v4, 0
	s_and_saveexec_b64 s[34:35], s[30:31]
.LBB18_718:
	v_lshrrev_b32_e32 v4, 24, v0
	s_movk_i32 s30, 0x80
	v_and_or_b32 v4, v4, s30, v1
.LBB18_719:
	s_or_b64 exec, exec, s[34:35]
.LBB18_720:
	s_or_b64 exec, exec, s[28:29]
	global_store_byte v[2:3], v4, off
.LBB18_721:
	s_mov_b64 s[28:29], -1
.LBB18_722:
	s_mov_b64 s[30:31], 0
.LBB18_723:
	s_and_b64 vcc, exec, s[30:31]
	s_cbranch_vccz .LBB18_764
; %bb.724:
	s_cmp_gt_i32 s37, 22
	s_mov_b64 s[30:31], -1
	s_cbranch_scc0 .LBB18_756
; %bb.725:
	s_cmp_lt_i32 s37, 24
	s_mov_b64 s[28:29], -1
	s_cbranch_scc1 .LBB18_745
; %bb.726:
	s_cmp_gt_i32 s37, 24
	s_cbranch_scc0 .LBB18_734
; %bb.727:
	v_and_b32_e32 v1, 0x7fffffff, v0
	s_mov_b32 s28, 0x47800000
	v_cmp_gt_u32_e32 vcc, s28, v1
	v_mov_b32_e32 v4, 0x80
	s_and_saveexec_b64 s[28:29], vcc
	s_cbranch_execz .LBB18_733
; %bb.728:
	s_mov_b32 s30, 0x37ffffff
	v_cmp_lt_u32_e32 vcc, s30, v1
	s_mov_b64 s[30:31], 0
                                        ; implicit-def: $vgpr1
	s_and_saveexec_b64 s[34:35], vcc
	s_xor_b64 s[34:35], exec, s[34:35]
	s_cbranch_execz .LBB18_824
; %bb.729:
	v_bfe_u32 v1, v0, 21, 1
	s_mov_b32 s39, 0x88fffff
	v_add3_u32 v1, v0, v1, s39
	s_mov_b64 s[30:31], exec
	v_lshrrev_b32_e32 v1, 21, v1
	s_andn2_saveexec_b64 s[34:35], s[34:35]
	s_cbranch_execnz .LBB18_825
.LBB18_730:
	s_or_b64 exec, exec, s[34:35]
	v_mov_b32_e32 v4, 0
	s_and_saveexec_b64 s[34:35], s[30:31]
.LBB18_731:
	v_lshrrev_b32_e32 v4, 24, v0
	s_movk_i32 s30, 0x80
	v_and_or_b32 v4, v4, s30, v1
.LBB18_732:
	s_or_b64 exec, exec, s[34:35]
.LBB18_733:
	s_or_b64 exec, exec, s[28:29]
	s_mov_b64 s[28:29], 0
	global_store_byte v[2:3], v4, off
.LBB18_734:
	s_and_b64 vcc, exec, s[28:29]
	s_cbranch_vccz .LBB18_744
; %bb.735:
	v_and_b32_e32 v4, 0x7fffffff, v0
	s_mov_b32 s28, 0x43f00000
	v_cmp_gt_u32_e32 vcc, s28, v4
                                        ; implicit-def: $vgpr1
	s_and_saveexec_b64 s[28:29], vcc
	s_xor_b64 s[28:29], exec, s[28:29]
	s_cbranch_execz .LBB18_741
; %bb.736:
	s_mov_b32 s30, 0x3c7fffff
	v_cmp_lt_u32_e32 vcc, s30, v4
                                        ; implicit-def: $vgpr1
	s_and_saveexec_b64 s[30:31], vcc
	s_xor_b64 s[30:31], exec, s[30:31]
; %bb.737:
	v_bfe_u32 v1, v0, 20, 1
	s_mov_b32 s34, 0x407ffff
	v_add3_u32 v1, v0, v1, s34
	v_lshrrev_b32_e32 v4, 20, v1
	v_and_b32_e32 v1, 0xff00000, v1
	s_mov_b32 s34, 0x7f00000
	v_mov_b32_e32 v5, 0x7e
	v_cmp_ne_u32_e32 vcc, s34, v1
	s_nop 1
	v_cndmask_b32_e32 v1, v5, v4, vcc
; %bb.738:
	s_andn2_saveexec_b64 s[30:31], s[30:31]
; %bb.739:
	s_mov_b32 s34, 0x46800000
	v_add_f32_e64 v1, |v0|, s34
; %bb.740:
	s_or_b64 exec, exec, s[30:31]
                                        ; implicit-def: $vgpr4
.LBB18_741:
	s_andn2_saveexec_b64 s[28:29], s[28:29]
; %bb.742:
	s_mov_b32 s30, 0x7f800000
	v_mov_b32_e32 v1, 0x7e
	v_mov_b32_e32 v5, 0x7f
	v_cmp_lt_u32_e32 vcc, s30, v4
	s_nop 1
	v_cndmask_b32_e32 v1, v1, v5, vcc
; %bb.743:
	s_or_b64 exec, exec, s[28:29]
	v_lshrrev_b32_e32 v4, 24, v0
	s_movk_i32 s28, 0x80
	v_and_or_b32 v1, v4, s28, v1
	global_store_byte v[2:3], v1, off
.LBB18_744:
	s_mov_b64 s[28:29], 0
.LBB18_745:
	s_andn2_b64 vcc, exec, s[28:29]
	s_cbranch_vccnz .LBB18_755
; %bb.746:
	v_and_b32_e32 v4, 0x7fffffff, v0
	s_mov_b32 s28, 0x47800000
	v_cmp_gt_u32_e32 vcc, s28, v4
                                        ; implicit-def: $vgpr1
	s_and_saveexec_b64 s[28:29], vcc
	s_xor_b64 s[28:29], exec, s[28:29]
	s_cbranch_execz .LBB18_752
; %bb.747:
	s_mov_b32 s30, 0x387fffff
	v_cmp_lt_u32_e32 vcc, s30, v4
                                        ; implicit-def: $vgpr1
	s_and_saveexec_b64 s[30:31], vcc
	s_xor_b64 s[30:31], exec, s[30:31]
; %bb.748:
	v_bfe_u32 v1, v0, 21, 1
	s_mov_b32 s34, 0x80fffff
	v_add3_u32 v1, v0, v1, s34
	v_lshrrev_b32_e32 v1, 21, v1
; %bb.749:
	s_andn2_saveexec_b64 s[30:31], s[30:31]
; %bb.750:
	s_mov_b32 s34, 0x43000000
	v_add_f32_e64 v1, |v0|, s34
; %bb.751:
	s_or_b64 exec, exec, s[30:31]
                                        ; implicit-def: $vgpr4
.LBB18_752:
	s_andn2_saveexec_b64 s[28:29], s[28:29]
; %bb.753:
	s_mov_b32 s30, 0x7f800000
	v_mov_b32_e32 v1, 0x7c
	v_mov_b32_e32 v5, 0x7f
	v_cmp_lt_u32_e32 vcc, s30, v4
	s_nop 1
	v_cndmask_b32_e32 v1, v1, v5, vcc
; %bb.754:
	s_or_b64 exec, exec, s[28:29]
	v_lshrrev_b32_e32 v4, 24, v0
	s_movk_i32 s28, 0x80
	v_and_or_b32 v1, v4, s28, v1
	global_store_byte v[2:3], v1, off
.LBB18_755:
	s_mov_b64 s[30:31], 0
	s_mov_b64 s[28:29], -1
.LBB18_756:
	s_andn2_b64 vcc, exec, s[30:31]
	s_cbranch_vccnz .LBB18_764
; %bb.757:
	s_cmp_gt_i32 s37, 14
	s_mov_b64 s[30:31], -1
	s_cbranch_scc0 .LBB18_761
; %bb.758:
	s_cmp_eq_u32 s37, 15
	s_mov_b64 s[0:1], -1
	s_cbranch_scc0 .LBB18_760
; %bb.759:
	v_bfe_u32 v1, v0, 16, 1
	s_movk_i32 s0, 0x7fff
	v_add3_u32 v1, v0, v1, s0
	v_cmp_o_f32_e32 vcc, v0, v0
	v_mov_b32_e32 v4, 0x7fc0
	s_mov_b64 s[28:29], -1
	v_cndmask_b32_sdwa v1, v4, v1, vcc dst_sel:DWORD dst_unused:UNUSED_PAD src0_sel:DWORD src1_sel:WORD_1
	global_store_short v[2:3], v1, off
	s_mov_b64 s[0:1], 0
.LBB18_760:
	s_mov_b64 s[30:31], 0
.LBB18_761:
	s_and_b64 vcc, exec, s[30:31]
	s_cbranch_vccz .LBB18_764
; %bb.762:
	s_cmp_eq_u32 s37, 11
	s_mov_b64 s[0:1], -1
	s_cbranch_scc0 .LBB18_764
; %bb.763:
	v_cmp_neq_f32_e32 vcc, 0, v0
	s_mov_b64 s[28:29], -1
	s_mov_b64 s[0:1], 0
	v_cndmask_b32_e64 v1, 0, 1, vcc
	global_store_byte v[2:3], v1, off
.LBB18_764:
	s_mov_b64 s[30:31], 0
.LBB18_765:
	s_and_b64 vcc, exec, s[30:31]
	s_cbranch_vccz .LBB18_804
; %bb.766:
	s_and_b32 s30, 0xffff, s36
	s_cmp_lt_i32 s30, 5
	s_mov_b64 s[28:29], -1
	s_cbranch_scc1 .LBB18_787
; %bb.767:
	s_cmp_lt_i32 s30, 8
	s_cbranch_scc1 .LBB18_777
; %bb.768:
	s_cmp_lt_i32 s30, 9
	s_cbranch_scc1 .LBB18_774
; %bb.769:
	s_cmp_gt_i32 s30, 9
	s_cbranch_scc0 .LBB18_771
; %bb.770:
	v_mov_b32_e32 v6, 0
	v_cvt_f64_f32_e32 v[4:5], v0
	v_mov_b32_e32 v7, v6
	s_mov_b64 s[28:29], 0
	global_store_dwordx4 v[2:3], v[4:7], off
.LBB18_771:
	s_andn2_b64 vcc, exec, s[28:29]
	s_cbranch_vccnz .LBB18_773
; %bb.772:
	v_mov_b32_e32 v1, 0
	global_store_dwordx2 v[2:3], v[0:1], off
.LBB18_773:
	s_mov_b64 s[28:29], 0
.LBB18_774:
	s_andn2_b64 vcc, exec, s[28:29]
	s_cbranch_vccnz .LBB18_776
; %bb.775:
	v_cvt_f16_f32_e32 v1, v0
	global_store_dword v[2:3], v1, off
.LBB18_776:
	s_mov_b64 s[28:29], 0
.LBB18_777:
	s_andn2_b64 vcc, exec, s[28:29]
	s_cbranch_vccnz .LBB18_786
; %bb.778:
	s_cmp_lt_i32 s30, 6
	s_mov_b64 s[28:29], -1
	s_cbranch_scc1 .LBB18_784
; %bb.779:
	s_cmp_gt_i32 s30, 6
	s_cbranch_scc0 .LBB18_781
; %bb.780:
	v_cvt_f64_f32_e32 v[4:5], v0
	s_mov_b64 s[28:29], 0
	global_store_dwordx2 v[2:3], v[4:5], off
.LBB18_781:
	s_andn2_b64 vcc, exec, s[28:29]
	s_cbranch_vccnz .LBB18_783
; %bb.782:
	global_store_dword v[2:3], v0, off
.LBB18_783:
	s_mov_b64 s[28:29], 0
.LBB18_784:
	s_andn2_b64 vcc, exec, s[28:29]
	s_cbranch_vccnz .LBB18_786
; %bb.785:
	v_cvt_f16_f32_e32 v1, v0
	global_store_short v[2:3], v1, off
.LBB18_786:
	s_mov_b64 s[28:29], 0
.LBB18_787:
	s_andn2_b64 vcc, exec, s[28:29]
	s_cbranch_vccnz .LBB18_803
; %bb.788:
	s_cmp_lt_i32 s30, 2
	s_mov_b64 s[28:29], -1
	s_cbranch_scc1 .LBB18_798
; %bb.789:
	s_cmp_lt_i32 s30, 3
	s_cbranch_scc1 .LBB18_795
; %bb.790:
	s_cmp_gt_i32 s30, 3
	s_cbranch_scc0 .LBB18_792
; %bb.791:
	v_trunc_f32_e32 v1, v0
	s_mov_b32 s28, 0x2f800000
	v_mul_f32_e64 v4, |v1|, s28
	v_floor_f32_e32 v4, v4
	s_mov_b32 s28, 0xcf800000
	v_cvt_u32_f32_e32 v5, v4
	v_fma_f32 v4, v4, s28, |v1|
	v_cvt_u32_f32_e32 v4, v4
	v_ashrrev_i32_e32 v1, 31, v1
	v_xor_b32_e32 v5, v5, v1
	s_mov_b64 s[28:29], 0
	v_xor_b32_e32 v4, v4, v1
	v_sub_co_u32_e32 v4, vcc, v4, v1
	s_nop 1
	v_subb_co_u32_e32 v5, vcc, v5, v1, vcc
	global_store_dwordx2 v[2:3], v[4:5], off
.LBB18_792:
	s_andn2_b64 vcc, exec, s[28:29]
	s_cbranch_vccnz .LBB18_794
; %bb.793:
	v_cvt_i32_f32_e32 v1, v0
	global_store_dword v[2:3], v1, off
.LBB18_794:
	s_mov_b64 s[28:29], 0
.LBB18_795:
	s_andn2_b64 vcc, exec, s[28:29]
	s_cbranch_vccnz .LBB18_797
; %bb.796:
	v_cvt_i32_f32_e32 v1, v0
	global_store_short v[2:3], v1, off
.LBB18_797:
	s_mov_b64 s[28:29], 0
.LBB18_798:
	s_andn2_b64 vcc, exec, s[28:29]
	s_cbranch_vccnz .LBB18_803
; %bb.799:
	s_cmp_gt_i32 s30, 0
	s_mov_b64 s[28:29], -1
	s_cbranch_scc0 .LBB18_801
; %bb.800:
	v_cvt_i32_f32_e32 v1, v0
	s_mov_b64 s[28:29], 0
	global_store_byte v[2:3], v1, off
.LBB18_801:
	s_andn2_b64 vcc, exec, s[28:29]
	s_cbranch_vccnz .LBB18_803
; %bb.802:
	v_trunc_f32_e32 v0, v0
	s_mov_b32 s28, 0x2f800000
	v_mul_f32_e64 v1, |v0|, s28
	v_floor_f32_e32 v1, v1
	s_mov_b32 s28, 0xcf800000
	v_fma_f32 v1, v1, s28, |v0|
	v_cvt_u32_f32_e32 v1, v1
	v_ashrrev_i32_e32 v0, 31, v0
	v_xor_b32_e32 v1, v1, v0
	v_sub_u32_e32 v0, v1, v0
	global_store_byte v[2:3], v0, off
.LBB18_803:
	s_mov_b64 s[28:29], -1
.LBB18_804:
	s_andn2_b64 vcc, exec, s[28:29]
	s_cbranch_vccnz .LBB18_806
; %bb.805:
	v_add_u32_e32 v8, 0x80, v8
	s_mov_b64 s[30:31], -1
	s_branch .LBB18_807
.LBB18_806:
	s_mov_b64 s[30:31], 0
                                        ; implicit-def: $vgpr8
.LBB18_807:
	s_andn2_b64 s[28:29], s[20:21], exec
	s_and_b64 s[0:1], s[0:1], exec
	s_or_b64 s[28:29], s[28:29], s[0:1]
	s_andn2_b64 s[0:1], s[18:19], exec
	s_and_b64 s[26:27], s[26:27], exec
	s_or_b64 s[0:1], s[0:1], s[26:27]
	s_orn2_b64 s[34:35], s[30:31], exec
.LBB18_808:
	s_or_b64 exec, exec, s[24:25]
	s_mov_b64 s[30:31], 0
	s_mov_b64 s[26:27], 0
	;; [unrolled: 1-line block ×3, first 2 shown]
                                        ; implicit-def: $vgpr0_vgpr1
                                        ; implicit-def: $vgpr4
	s_and_saveexec_b64 s[24:25], s[34:35]
	s_cbranch_execz .LBB18_893
; %bb.809:
	v_cmp_gt_i32_e32 vcc, s38, v8
	s_mov_b64 s[34:35], 0
	s_mov_b64 s[38:39], s[0:1]
	;; [unrolled: 1-line block ×3, first 2 shown]
                                        ; implicit-def: $vgpr0_vgpr1
                                        ; implicit-def: $vgpr4
	s_and_saveexec_b64 s[26:27], vcc
	s_cbranch_execz .LBB18_892
; %bb.810:
	v_mul_lo_u32 v0, v8, s9
	v_ashrrev_i32_e32 v1, 31, v0
	s_and_b32 s43, 0xffff, s42
	s_cmp_lt_i32 s43, 11
	v_lshl_add_u64 v[0:1], s[6:7], 0, v[0:1]
	s_cbranch_scc1 .LBB18_817
; %bb.811:
	s_cmp_gt_i32 s43, 25
	s_cbranch_scc0 .LBB18_818
; %bb.812:
	s_cmp_gt_i32 s43, 28
	s_cbranch_scc0 .LBB18_819
	;; [unrolled: 3-line block ×4, first 2 shown]
; %bb.815:
	s_cmp_eq_u32 s43, 46
	s_mov_b64 s[38:39], 0
	s_cbranch_scc0 .LBB18_826
; %bb.816:
	global_load_dword v2, v[0:1], off
	s_mov_b64 s[36:37], -1
	s_waitcnt vmcnt(0)
	v_lshlrev_b32_e32 v4, 16, v2
	s_branch .LBB18_828
.LBB18_817:
	s_mov_b64 s[38:39], -1
                                        ; implicit-def: $vgpr4
	s_mov_b64 s[30:31], s[0:1]
	s_branch .LBB18_891
.LBB18_818:
	s_mov_b64 s[38:39], -1
	s_mov_b64 s[30:31], s[0:1]
                                        ; implicit-def: $vgpr4
	s_branch .LBB18_857
.LBB18_819:
	s_mov_b64 s[38:39], -1
	s_mov_b64 s[30:31], s[0:1]
                                        ; implicit-def: $vgpr4
	s_branch .LBB18_838
.LBB18_820:
	s_mov_b64 s[38:39], -1
	s_mov_b64 s[30:31], s[0:1]
                                        ; implicit-def: $vgpr4
	s_branch .LBB18_833
.LBB18_821:
	s_andn2_saveexec_b64 s[34:35], s[34:35]
	s_cbranch_execz .LBB18_717
.LBB18_822:
	s_mov_b32 s39, 0x46000000
	v_add_f32_e64 v1, |v0|, s39
	v_and_b32_e32 v1, 0xff, v1
	v_cmp_ne_u32_e32 vcc, 0, v1
	s_andn2_b64 s[30:31], s[30:31], exec
	s_and_b64 s[40:41], vcc, exec
	s_or_b64 s[30:31], s[30:31], s[40:41]
	s_or_b64 exec, exec, s[34:35]
	v_mov_b32_e32 v4, 0
	s_and_saveexec_b64 s[34:35], s[30:31]
	s_cbranch_execnz .LBB18_718
	s_branch .LBB18_719
.LBB18_823:
	s_mov_b64 s[38:39], -1
	s_mov_b64 s[30:31], s[0:1]
	s_branch .LBB18_827
.LBB18_824:
	s_andn2_saveexec_b64 s[34:35], s[34:35]
	s_cbranch_execz .LBB18_730
.LBB18_825:
	s_mov_b32 s39, 0x42800000
	v_add_f32_e64 v1, |v0|, s39
	v_and_b32_e32 v1, 0xff, v1
	v_cmp_ne_u32_e32 vcc, 0, v1
	s_andn2_b64 s[30:31], s[30:31], exec
	s_and_b64 s[40:41], vcc, exec
	s_or_b64 s[30:31], s[30:31], s[40:41]
	s_or_b64 exec, exec, s[34:35]
	v_mov_b32_e32 v4, 0
	s_and_saveexec_b64 s[34:35], s[30:31]
	s_cbranch_execnz .LBB18_731
	s_branch .LBB18_732
.LBB18_826:
	s_mov_b64 s[30:31], -1
.LBB18_827:
                                        ; implicit-def: $vgpr4
.LBB18_828:
	s_and_b64 vcc, exec, s[38:39]
	s_cbranch_vccz .LBB18_832
; %bb.829:
	s_cmp_eq_u32 s43, 44
	s_cbranch_scc0 .LBB18_831
; %bb.830:
	global_load_ubyte v2, v[0:1], off
	s_movk_i32 s36, 0xff
	v_mov_b32_e32 v3, 0x7f800001
	v_mov_b32_e32 v4, 0x400000
	s_mov_b64 s[30:31], 0
	s_waitcnt vmcnt(0)
	v_lshlrev_b32_e32 v5, 23, v2
	v_cmp_ne_u32_e32 vcc, s36, v2
	s_mov_b64 s[36:37], -1
	s_nop 0
	v_cndmask_b32_e32 v3, v3, v5, vcc
	v_cmp_ne_u32_e32 vcc, 0, v2
	s_nop 1
	v_cndmask_b32_e32 v4, v4, v3, vcc
	s_branch .LBB18_832
.LBB18_831:
	s_mov_b64 s[30:31], -1
                                        ; implicit-def: $vgpr4
.LBB18_832:
	s_mov_b64 s[38:39], 0
.LBB18_833:
	s_and_b64 vcc, exec, s[38:39]
	s_cbranch_vccz .LBB18_837
; %bb.834:
	s_cmp_eq_u32 s43, 29
	s_cbranch_scc0 .LBB18_836
; %bb.835:
	global_load_dwordx2 v[2:3], v[0:1], off
	s_mov_b64 s[30:31], 0
	s_mov_b64 s[36:37], -1
	s_mov_b64 s[38:39], 0
	s_waitcnt vmcnt(0)
	v_ffbh_u32_e32 v4, v3
	v_min_u32_e32 v4, 32, v4
	v_lshlrev_b64 v[2:3], v4, v[2:3]
	v_min_u32_e32 v2, 1, v2
	v_or_b32_e32 v2, v3, v2
	v_cvt_f32_u32_e32 v2, v2
	v_sub_u32_e32 v3, 32, v4
	v_ldexp_f32 v4, v2, v3
	s_branch .LBB18_838
.LBB18_836:
	s_mov_b64 s[30:31], -1
                                        ; implicit-def: $vgpr4
.LBB18_837:
	s_mov_b64 s[38:39], 0
.LBB18_838:
	s_and_b64 vcc, exec, s[38:39]
	s_cbranch_vccz .LBB18_856
; %bb.839:
	s_cmp_lt_i32 s43, 27
	s_cbranch_scc1 .LBB18_842
; %bb.840:
	s_cmp_gt_i32 s43, 27
	s_cbranch_scc0 .LBB18_843
; %bb.841:
	global_load_dword v2, v[0:1], off
	s_mov_b64 s[36:37], 0
	s_waitcnt vmcnt(0)
	v_cvt_f32_u32_e32 v4, v2
	s_branch .LBB18_844
.LBB18_842:
	s_mov_b64 s[36:37], -1
                                        ; implicit-def: $vgpr4
	s_branch .LBB18_847
.LBB18_843:
	s_mov_b64 s[36:37], -1
                                        ; implicit-def: $vgpr4
.LBB18_844:
	s_andn2_b64 vcc, exec, s[36:37]
	s_cbranch_vccnz .LBB18_846
; %bb.845:
	global_load_ushort v2, v[0:1], off
	s_waitcnt vmcnt(0)
	v_cvt_f32_u32_e32 v4, v2
.LBB18_846:
	s_mov_b64 s[36:37], 0
.LBB18_847:
	s_andn2_b64 vcc, exec, s[36:37]
	s_cbranch_vccnz .LBB18_855
; %bb.848:
	global_load_ubyte v2, v[0:1], off
	s_movk_i32 s36, 0x7f
	s_waitcnt vmcnt(0)
	v_cmp_lt_i16_e32 vcc, s36, v2
	s_mov_b64 s[36:37], 0
	s_and_saveexec_b64 s[38:39], vcc
	s_xor_b64 s[38:39], exec, s[38:39]
	s_cbranch_execz .LBB18_869
; %bb.849:
	s_movk_i32 s36, 0x80
	v_cmp_eq_u16_e32 vcc, s36, v2
	s_mov_b64 s[36:37], -1
	s_and_saveexec_b64 s[40:41], vcc
; %bb.850:
	s_xor_b64 s[36:37], exec, -1
; %bb.851:
	s_or_b64 exec, exec, s[40:41]
	s_and_b64 s[36:37], s[36:37], exec
	s_or_saveexec_b64 s[38:39], s[38:39]
	v_mov_b32_e32 v4, 0x7f800001
	s_xor_b64 exec, exec, s[38:39]
	s_cbranch_execnz .LBB18_870
.LBB18_852:
	s_or_b64 exec, exec, s[38:39]
	s_and_saveexec_b64 s[38:39], s[36:37]
	s_cbranch_execz .LBB18_854
.LBB18_853:
	v_lshlrev_b32_e32 v3, 24, v2
	v_and_b32_e32 v2, 0xffff, v2
	v_and_b32_e32 v4, 7, v2
	v_ffbh_u32_e32 v6, v4
	v_min_u32_e32 v6, 32, v6
	v_subrev_u32_e32 v7, 28, v6
	v_bfe_u32 v5, v2, 3, 4
	v_lshlrev_b32_e32 v2, v7, v2
	v_sub_u32_e32 v6, 29, v6
	v_and_b32_e32 v2, 7, v2
	v_cmp_eq_u32_e32 vcc, 0, v5
	v_and_b32_e32 v3, 0x80000000, v3
	s_nop 0
	v_cndmask_b32_e32 v5, v5, v6, vcc
	v_cndmask_b32_e32 v2, v4, v2, vcc
	v_mov_b32_e32 v4, 0x3b800000
	v_lshlrev_b32_e32 v2, 20, v2
	v_lshl_add_u32 v4, v5, 23, v4
	v_or3_b32 v4, v3, v4, v2
.LBB18_854:
	s_or_b64 exec, exec, s[38:39]
.LBB18_855:
	s_mov_b64 s[36:37], -1
.LBB18_856:
	s_mov_b64 s[38:39], 0
.LBB18_857:
	s_and_b64 vcc, exec, s[38:39]
	s_cbranch_vccz .LBB18_890
; %bb.858:
	s_cmp_gt_i32 s43, 22
	s_cbranch_scc0 .LBB18_868
; %bb.859:
	s_cmp_lt_i32 s43, 24
	s_cbranch_scc1 .LBB18_871
; %bb.860:
	s_cmp_gt_i32 s43, 24
	s_cbranch_scc0 .LBB18_872
; %bb.861:
	global_load_ubyte v2, v[0:1], off
	s_movk_i32 s34, 0x7f
	s_waitcnt vmcnt(0)
	v_cmp_lt_i16_e32 vcc, s34, v2
	s_mov_b64 s[34:35], 0
	s_and_saveexec_b64 s[36:37], vcc
	s_xor_b64 s[36:37], exec, s[36:37]
	s_cbranch_execz .LBB18_884
; %bb.862:
	s_movk_i32 s34, 0x80
	v_cmp_eq_u16_e32 vcc, s34, v2
	s_mov_b64 s[34:35], -1
	s_and_saveexec_b64 s[38:39], vcc
; %bb.863:
	s_xor_b64 s[34:35], exec, -1
; %bb.864:
	s_or_b64 exec, exec, s[38:39]
	s_and_b64 s[34:35], s[34:35], exec
	s_or_saveexec_b64 s[36:37], s[36:37]
	v_mov_b32_e32 v4, 0x7f800001
	s_xor_b64 exec, exec, s[36:37]
	s_cbranch_execnz .LBB18_885
.LBB18_865:
	s_or_b64 exec, exec, s[36:37]
	s_and_saveexec_b64 s[36:37], s[34:35]
	s_cbranch_execz .LBB18_867
.LBB18_866:
	v_lshlrev_b32_e32 v3, 24, v2
	v_and_b32_e32 v2, 0xffff, v2
	v_and_b32_e32 v4, 3, v2
	v_ffbh_u32_e32 v6, v4
	v_min_u32_e32 v6, 32, v6
	v_subrev_u32_e32 v7, 29, v6
	v_bfe_u32 v5, v2, 2, 5
	v_lshlrev_b32_e32 v2, v7, v2
	v_sub_u32_e32 v6, 30, v6
	v_and_b32_e32 v2, 3, v2
	v_cmp_eq_u32_e32 vcc, 0, v5
	v_and_b32_e32 v3, 0x80000000, v3
	s_nop 0
	v_cndmask_b32_e32 v5, v5, v6, vcc
	v_cndmask_b32_e32 v2, v4, v2, vcc
	v_mov_b32_e32 v4, 0x37800000
	v_lshlrev_b32_e32 v2, 21, v2
	v_lshl_add_u32 v4, v5, 23, v4
	v_or3_b32 v4, v3, v4, v2
.LBB18_867:
	s_or_b64 exec, exec, s[36:37]
	s_mov_b64 s[34:35], 0
	s_branch .LBB18_873
.LBB18_868:
	s_mov_b64 s[34:35], -1
                                        ; implicit-def: $vgpr4
	s_branch .LBB18_879
.LBB18_869:
	s_or_saveexec_b64 s[38:39], s[38:39]
	v_mov_b32_e32 v4, 0x7f800001
	s_xor_b64 exec, exec, s[38:39]
	s_cbranch_execz .LBB18_852
.LBB18_870:
	v_cmp_ne_u16_e32 vcc, 0, v2
	s_andn2_b64 s[36:37], s[36:37], exec
	s_and_b64 s[40:41], vcc, exec
	v_mov_b32_e32 v4, 0
	s_or_b64 s[36:37], s[36:37], s[40:41]
	s_or_b64 exec, exec, s[38:39]
	s_and_saveexec_b64 s[38:39], s[36:37]
	s_cbranch_execnz .LBB18_853
	s_branch .LBB18_854
.LBB18_871:
	s_mov_b64 s[34:35], -1
                                        ; implicit-def: $vgpr4
	s_branch .LBB18_876
.LBB18_872:
	s_mov_b64 s[34:35], -1
                                        ; implicit-def: $vgpr4
.LBB18_873:
	s_and_b64 vcc, exec, s[34:35]
	s_cbranch_vccz .LBB18_875
; %bb.874:
	global_load_ubyte v2, v[0:1], off
	s_mov_b32 s34, 0x7f800000
	s_waitcnt vmcnt(0)
	v_lshlrev_b32_e32 v2, 24, v2
	v_and_b32_e32 v3, 0x7f000000, v2
	v_ffbh_u32_e32 v4, v3
	v_min_u32_e32 v4, 32, v4
	v_sub_u32_e64 v4, v4, 4 clamp
	v_lshlrev_b32_e32 v6, v4, v3
	v_lshlrev_b32_e32 v4, 23, v4
	v_lshrrev_b32_e32 v6, 4, v6
	v_add_u32_e32 v5, 0x1000000, v3
	v_sub_u32_e32 v4, v6, v4
	v_ashrrev_i32_e32 v5, 8, v5
	v_add_u32_e32 v4, 0x3c000000, v4
	v_and_or_b32 v4, v5, s34, v4
	v_cmp_ne_u32_e32 vcc, 0, v3
	s_brev_b32 s34, 1
	s_nop 0
	v_cndmask_b32_e32 v3, 0, v4, vcc
	v_and_or_b32 v4, v2, s34, v3
.LBB18_875:
	s_mov_b64 s[34:35], 0
.LBB18_876:
	s_andn2_b64 vcc, exec, s[34:35]
	s_cbranch_vccnz .LBB18_878
; %bb.877:
	global_load_ubyte v2, v[0:1], off
	s_movk_i32 s34, 0x7f00
	s_brev_b32 s35, 16
	s_waitcnt vmcnt(0)
	v_lshlrev_b16_e32 v3, 8, v2
	v_lshlrev_b32_e32 v2, 25, v2
	v_lshrrev_b32_e32 v4, 4, v2
	v_and_or_b32 v5, v3, s34, 0.5
	v_or_b32_e32 v4, 0x70000000, v4
	v_add_f32_e32 v5, -0.5, v5
	v_mul_f32_e32 v4, 0x7800000, v4
	v_cmp_gt_u32_e32 vcc, s35, v2
	v_bfe_i32 v3, v3, 0, 16
	s_brev_b32 s34, 1
	v_cndmask_b32_e32 v2, v4, v5, vcc
	v_and_or_b32 v4, v3, s34, v2
.LBB18_878:
	s_mov_b64 s[34:35], 0
	s_mov_b64 s[36:37], -1
.LBB18_879:
	s_andn2_b64 vcc, exec, s[34:35]
	s_mov_b64 s[34:35], 0
	s_cbranch_vccnz .LBB18_890
; %bb.880:
	s_cmp_gt_i32 s43, 14
	s_cbranch_scc0 .LBB18_883
; %bb.881:
	s_cmp_eq_u32 s43, 15
	s_cbranch_scc0 .LBB18_886
; %bb.882:
	global_load_ushort v2, v[0:1], off
	s_mov_b64 s[30:31], 0
	s_mov_b64 s[36:37], -1
	s_waitcnt vmcnt(0)
	v_lshlrev_b32_e32 v4, 16, v2
	s_branch .LBB18_887
.LBB18_883:
	s_mov_b64 s[38:39], -1
                                        ; implicit-def: $vgpr4
	s_branch .LBB18_888
.LBB18_884:
	s_or_saveexec_b64 s[36:37], s[36:37]
	v_mov_b32_e32 v4, 0x7f800001
	s_xor_b64 exec, exec, s[36:37]
	s_cbranch_execz .LBB18_865
.LBB18_885:
	v_cmp_ne_u16_e32 vcc, 0, v2
	s_andn2_b64 s[34:35], s[34:35], exec
	s_and_b64 s[38:39], vcc, exec
	v_mov_b32_e32 v4, 0
	s_or_b64 s[34:35], s[34:35], s[38:39]
	s_or_b64 exec, exec, s[36:37]
	s_and_saveexec_b64 s[36:37], s[34:35]
	s_cbranch_execnz .LBB18_866
	s_branch .LBB18_867
.LBB18_886:
	s_mov_b64 s[30:31], -1
                                        ; implicit-def: $vgpr4
.LBB18_887:
	s_mov_b64 s[38:39], 0
.LBB18_888:
	s_and_b64 vcc, exec, s[38:39]
	s_cbranch_vccz .LBB18_890
; %bb.889:
	s_cmp_lg_u32 s43, 11
	s_cselect_b64 s[38:39], -1, 0
	s_andn2_b64 s[30:31], s[30:31], exec
	s_and_b64 s[38:39], s[38:39], exec
	s_mov_b64 s[34:35], -1
	s_or_b64 s[30:31], s[30:31], s[38:39]
.LBB18_890:
	s_mov_b64 s[38:39], 0
.LBB18_891:
	s_and_b64 s[40:41], s[38:39], exec
	s_andn2_b64 s[38:39], s[0:1], exec
	s_and_b64 s[30:31], s[30:31], exec
	s_and_b64 s[36:37], s[36:37], exec
	;; [unrolled: 1-line block ×3, first 2 shown]
	s_or_b64 s[38:39], s[38:39], s[30:31]
.LBB18_892:
	s_or_b64 exec, exec, s[26:27]
	s_and_b64 s[30:31], s[34:35], exec
	s_andn2_b64 s[0:1], s[0:1], exec
	s_and_b64 s[34:35], s[38:39], exec
	s_and_b64 s[36:37], s[36:37], exec
	s_and_b64 s[26:27], s[40:41], exec
	s_or_b64 s[0:1], s[0:1], s[34:35]
.LBB18_893:
	s_or_b64 exec, exec, s[24:25]
	s_andn2_b64 s[20:21], s[20:21], exec
	s_and_b64 s[24:25], s[28:29], exec
	s_andn2_b64 s[18:19], s[18:19], exec
	s_and_b64 s[0:1], s[0:1], exec
	s_or_b64 s[20:21], s[20:21], s[24:25]
	s_and_b64 s[28:29], s[36:37], exec
	s_and_b64 s[26:27], s[26:27], exec
	;; [unrolled: 1-line block ×3, first 2 shown]
	s_or_b64 s[18:19], s[18:19], s[0:1]
.LBB18_894:
	s_or_b64 exec, exec, s[22:23]
	s_andn2_b64 s[0:1], s[12:13], exec
	s_and_b64 s[12:13], s[20:21], exec
	s_andn2_b64 s[14:15], s[14:15], exec
	s_and_b64 s[18:19], s[18:19], exec
	s_or_b64 s[12:13], s[0:1], s[12:13]
	s_and_b64 s[0:1], s[28:29], exec
	s_and_b64 s[22:23], s[26:27], exec
	;; [unrolled: 1-line block ×3, first 2 shown]
	s_or_b64 s[14:15], s[14:15], s[18:19]
	s_or_b64 exec, exec, s[16:17]
	s_mov_b64 s[16:17], 0
	s_and_saveexec_b64 s[18:19], s[14:15]
	s_cbranch_execz .LBB18_274
.LBB18_895:
	s_mov_b64 s[16:17], exec
	s_andn2_b64 s[20:21], s[20:21], exec
	s_trap 2
	s_or_b64 exec, exec, s[18:19]
	s_and_saveexec_b64 s[14:15], s[20:21]
	s_xor_b64 s[14:15], exec, s[14:15]
	s_cbranch_execnz .LBB18_275
.LBB18_896:
	s_or_b64 exec, exec, s[14:15]
	s_and_saveexec_b64 s[14:15], s[22:23]
	s_cbranch_execz .LBB18_942
.LBB18_897:
	s_sext_i32_i16 s18, s42
	s_cmp_lt_i32 s18, 5
	s_cbranch_scc1 .LBB18_902
; %bb.898:
	s_cmp_lt_i32 s18, 8
	s_cbranch_scc1 .LBB18_903
; %bb.899:
	;; [unrolled: 3-line block ×3, first 2 shown]
	s_cmp_gt_i32 s18, 9
	s_cbranch_scc0 .LBB18_905
; %bb.901:
	global_load_dwordx2 v[2:3], v[0:1], off
	s_mov_b64 s[18:19], 0
	s_waitcnt vmcnt(0)
	v_cvt_f32_f64_e32 v4, v[2:3]
	s_branch .LBB18_906
.LBB18_902:
                                        ; implicit-def: $vgpr4
	s_branch .LBB18_923
.LBB18_903:
                                        ; implicit-def: $vgpr4
	s_branch .LBB18_912
.LBB18_904:
	s_mov_b64 s[18:19], -1
                                        ; implicit-def: $vgpr4
	s_branch .LBB18_909
.LBB18_905:
	s_mov_b64 s[18:19], -1
                                        ; implicit-def: $vgpr4
.LBB18_906:
	s_andn2_b64 vcc, exec, s[18:19]
	s_cbranch_vccnz .LBB18_908
; %bb.907:
	global_load_dword v4, v[0:1], off
.LBB18_908:
	s_mov_b64 s[18:19], 0
.LBB18_909:
	s_andn2_b64 vcc, exec, s[18:19]
	s_cbranch_vccnz .LBB18_911
; %bb.910:
	global_load_dword v2, v[0:1], off
	s_waitcnt vmcnt(0)
	v_cvt_f32_f16_e32 v4, v2
.LBB18_911:
	s_cbranch_execnz .LBB18_922
.LBB18_912:
	s_sext_i32_i16 s18, s42
	s_cmp_lt_i32 s18, 6
	s_cbranch_scc1 .LBB18_915
; %bb.913:
	s_cmp_gt_i32 s18, 6
	s_cbranch_scc0 .LBB18_916
; %bb.914:
	global_load_dwordx2 v[2:3], v[0:1], off
	s_mov_b64 s[18:19], 0
	s_waitcnt vmcnt(0)
	v_cvt_f32_f64_e32 v4, v[2:3]
	s_branch .LBB18_917
.LBB18_915:
	s_mov_b64 s[18:19], -1
                                        ; implicit-def: $vgpr4
	s_branch .LBB18_920
.LBB18_916:
	s_mov_b64 s[18:19], -1
                                        ; implicit-def: $vgpr4
.LBB18_917:
	s_andn2_b64 vcc, exec, s[18:19]
	s_cbranch_vccnz .LBB18_919
; %bb.918:
	global_load_dword v4, v[0:1], off
.LBB18_919:
	s_mov_b64 s[18:19], 0
.LBB18_920:
	s_andn2_b64 vcc, exec, s[18:19]
	s_cbranch_vccnz .LBB18_922
; %bb.921:
	global_load_ushort v2, v[0:1], off
	s_waitcnt vmcnt(0)
	v_cvt_f32_f16_e32 v4, v2
.LBB18_922:
	s_cbranch_execnz .LBB18_941
.LBB18_923:
	s_sext_i32_i16 s18, s42
	s_cmp_lt_i32 s18, 2
	s_cbranch_scc1 .LBB18_927
; %bb.924:
	s_cmp_lt_i32 s18, 3
	s_cbranch_scc1 .LBB18_928
; %bb.925:
	s_cmp_gt_i32 s18, 3
	s_cbranch_scc0 .LBB18_929
; %bb.926:
	global_load_dwordx2 v[2:3], v[0:1], off
	s_mov_b64 s[18:19], 0
	s_waitcnt vmcnt(0)
	v_xor_b32_e32 v5, v2, v3
	v_ffbh_i32_e32 v4, v3
	v_ashrrev_i32_e32 v5, 31, v5
	v_add_u32_e32 v4, -1, v4
	v_add_u32_e32 v5, 32, v5
	v_min_u32_e32 v4, v4, v5
	v_lshlrev_b64 v[2:3], v4, v[2:3]
	v_min_u32_e32 v2, 1, v2
	v_or_b32_e32 v2, v3, v2
	v_cvt_f32_i32_e32 v2, v2
	v_sub_u32_e32 v3, 32, v4
	v_ldexp_f32 v4, v2, v3
	s_branch .LBB18_930
.LBB18_927:
                                        ; implicit-def: $vgpr4
	s_branch .LBB18_936
.LBB18_928:
	s_mov_b64 s[18:19], -1
                                        ; implicit-def: $vgpr4
	s_branch .LBB18_933
.LBB18_929:
	s_mov_b64 s[18:19], -1
                                        ; implicit-def: $vgpr4
.LBB18_930:
	s_andn2_b64 vcc, exec, s[18:19]
	s_cbranch_vccnz .LBB18_932
; %bb.931:
	global_load_dword v2, v[0:1], off
	s_waitcnt vmcnt(0)
	v_cvt_f32_i32_e32 v4, v2
.LBB18_932:
	s_mov_b64 s[18:19], 0
.LBB18_933:
	s_andn2_b64 vcc, exec, s[18:19]
	s_cbranch_vccnz .LBB18_935
; %bb.934:
	global_load_sshort v2, v[0:1], off
	s_waitcnt vmcnt(0)
	v_cvt_f32_i32_e32 v4, v2
.LBB18_935:
	s_cbranch_execnz .LBB18_941
.LBB18_936:
	s_sext_i32_i16 s18, s42
	s_cmp_gt_i32 s18, 0
	s_cbranch_scc0 .LBB18_938
; %bb.937:
	global_load_sbyte v2, v[0:1], off
	s_mov_b64 s[18:19], 0
	s_waitcnt vmcnt(0)
	v_cvt_f32_i32_e32 v4, v2
	s_branch .LBB18_939
.LBB18_938:
	s_mov_b64 s[18:19], -1
                                        ; implicit-def: $vgpr4
.LBB18_939:
	s_andn2_b64 vcc, exec, s[18:19]
	s_cbranch_vccnz .LBB18_941
; %bb.940:
	global_load_ubyte v0, v[0:1], off
	s_waitcnt vmcnt(0)
	v_cvt_f32_ubyte0_e32 v4, v0
.LBB18_941:
	s_or_b64 s[0:1], s[0:1], exec
.LBB18_942:
	s_or_b64 exec, exec, s[14:15]
	s_mov_b64 s[20:21], 0
	s_mov_b64 s[18:19], 0
                                        ; implicit-def: $sgpr26
                                        ; implicit-def: $vgpr2_vgpr3
                                        ; implicit-def: $vgpr0
	s_and_saveexec_b64 s[14:15], s[0:1]
	s_cbranch_execz .LBB18_972
; %bb.943:
	s_mov_b32 s0, 0x41000000
	s_waitcnt vmcnt(0)
	v_cmp_le_f32_e64 s[0:1], |v4|, s0
                                        ; implicit-def: $vgpr0
	s_and_saveexec_b64 s[18:19], s[0:1]
	s_xor_b64 s[18:19], exec, s[18:19]
	s_cbranch_execz .LBB18_949
; %bb.944:
	v_fma_f32 v0, |v4|, 0.5, -2.0
	v_mov_b32_e32 v1, 0xa3c2be86
	v_fmac_f32_e32 v1, 0x224cf950, v0
	v_fmaak_f32 v2, v0, v1, 0xa24cf950
	v_add_f32_e32 v2, 0x25331f1f, v2
	v_fma_f32 v1, v0, v2, -v1
	v_add_f32_e32 v1, 0xa69f5554, v1
	v_fma_f32 v2, v0, v1, -v2
	;; [unrolled: 2-line block ×25, first 2 shown]
	v_add_f32_e32 v1, 0xbe34a688, v1
	s_mov_b32 s0, 0x3fb8aa3b
	v_fma_f32 v0, v0, v1, -v2
	v_mul_f32_e64 v1, |v4|, s0
	v_rndne_f32_e32 v3, v1
	v_sub_f32_e32 v5, v1, v3
	v_fma_f32 v1, |v4|, s0, -v1
	s_mov_b32 s0, 0x32a5705f
	v_fma_f32 v1, |v4|, s0, v1
	v_add_f32_e32 v1, v5, v1
	v_exp_f32_e32 v5, v1
	v_cvt_i32_f32_e32 v3, v3
	v_add_f32_e32 v0, 0x3e81531c, v0
	v_sub_f32_e32 v0, v0, v2
	v_mul_f32_e32 v0, 0.5, v0
	s_mov_b32 s0, 0xc2ce8ed0
	v_mul_f32_e64 v1, |v4|, v0
	v_ldexp_f32 v0, v5, v3
	v_cmp_nlt_f32_e64 s[0:1], |v4|, s0
	v_mov_b32_e32 v2, 0x7f800000
	v_cmp_ngt_f32_e32 vcc, 0, v4
	v_cndmask_b32_e64 v0, 0, v0, s[0:1]
	s_mov_b32 s0, 0x42b17218
	v_cmp_ngt_f32_e64 s[0:1], |v4|, s0
	s_nop 1
	v_cndmask_b32_e64 v2, v2, v0, s[0:1]
                                        ; implicit-def: $vgpr0
	s_and_saveexec_b64 s[0:1], vcc
	s_xor_b64 s[0:1], exec, s[0:1]
; %bb.945:
	v_mul_f32_e32 v0, v2, v1
                                        ; implicit-def: $vgpr2
                                        ; implicit-def: $vgpr1
; %bb.946:
	s_andn2_saveexec_b64 s[0:1], s[0:1]
; %bb.947:
	v_mul_f32_e64 v0, v1, -v2
; %bb.948:
	s_or_b64 exec, exec, s[0:1]
                                        ; implicit-def: $vgpr4
.LBB18_949:
	s_andn2_saveexec_b64 s[18:19], s[18:19]
	s_cbranch_execz .LBB18_955
; %bb.950:
	v_and_b32_e32 v0, 0x7fffffff, v4
	s_mov_b32 s20, 0x42000000
	v_div_scale_f32 v1, s[0:1], v0, v0, s20
	v_rcp_f32_e32 v2, v1
	v_div_scale_f32 v0, vcc, s20, v0, s20
	s_mov_b32 s0, 0x3fb8aa3b
	v_fma_f32 v3, -v1, v2, 1.0
	v_fmac_f32_e32 v2, v3, v2
	v_mul_f32_e32 v3, v0, v2
	v_fma_f32 v5, -v1, v3, v0
	v_fmac_f32_e32 v3, v5, v2
	v_fma_f32 v0, -v1, v3, v0
	v_div_fmas_f32 v0, v0, v2, v3
	v_div_fixup_f32 v0, v0, |v4|, s20
	v_add_f32_e32 v0, -2.0, v0
	v_mov_b32_e32 v1, 0x22a2dc57
	v_fmac_f32_e32 v1, 0x230aab6e, v0
	v_fmaak_f32 v2, v0, v1, 0xa30aab6e
	v_add_f32_e32 v2, 0xa456751e, v2
	v_fma_f32 v1, v0, v2, -v1
	v_add_f32_e32 v1, 0xa4140365, v1
	v_fma_f32 v2, v0, v1, -v2
	;; [unrolled: 2-line block ×17, first 2 shown]
	v_add_f32_e32 v1, 0xb2e20a9d, v1
	v_mul_f32_e64 v3, |v4|, s0
	v_fma_f32 v2, v0, v1, -v2
	v_rndne_f32_e32 v5, v3
	v_add_f32_e32 v2, 0xb486dfe9, v2
	v_sub_f32_e32 v6, v3, v5
	v_fma_f32 v3, |v4|, s0, -v3
	s_mov_b32 s0, 0x32a5705f
	v_fma_f32 v1, v0, v2, -v1
	v_fma_f32 v3, |v4|, s0, v3
	v_add_f32_e32 v1, 0xb68246fa, v1
	v_add_f32_e32 v3, v6, v3
	v_fma_f32 v2, v0, v1, -v2
	v_exp_f32_e32 v3, v3
	v_cvt_i32_f32_e32 v5, v5
	v_add_f32_e32 v2, 0xb8e7ebfc, v2
	v_fma_f32 v1, v0, v2, -v1
	v_add_f32_e32 v1, 0xbc1fed03, v1
	s_mov_b32 s0, 0xc2ce8ed0
	v_fma_f32 v0, v0, v1, -v2
	v_ldexp_f32 v1, v3, v5
	v_cmp_nlt_f32_e64 s[0:1], |v4|, s0
	v_add_f32_e32 v0, 0x3f4750c6, v0
	v_mov_b32_e32 v3, 0x7f800000
	v_cndmask_b32_e64 v1, 0, v1, s[0:1]
	s_mov_b32 s0, 0x42b17218
	v_cmp_ngt_f32_e64 s[0:1], |v4|, s0
	v_cmp_ngt_f32_e32 vcc, 0, v4
	v_sub_f32_e32 v2, v0, v2
	v_cndmask_b32_e64 v1, v3, v1, s[0:1]
                                        ; implicit-def: $vgpr0
	s_and_saveexec_b64 s[0:1], vcc
	s_xor_b64 s[20:21], exec, s[0:1]
	s_cbranch_execz .LBB18_952
; %bb.951:
	s_mov_b32 s0, 0xf800000
	s_mov_b32 s1, 0x4f800000
	v_mul_f32_e64 v0, |v4|, s1
	v_cmp_lt_f32_e64 vcc, |v4|, s0
	v_mul_f32_e32 v2, 0.5, v2
	v_mul_f32_e32 v1, v1, v2
	v_cndmask_b32_e64 v0, |v4|, v0, vcc
	v_sqrt_f32_e32 v3, v0
	s_nop 0
	v_add_u32_e32 v2, -1, v3
	v_fma_f32 v4, -v2, v3, v0
	v_cmp_ge_f32_e64 s[0:1], 0, v4
	v_add_u32_e32 v4, 1, v3
	s_nop 0
	v_cndmask_b32_e64 v2, v3, v2, s[0:1]
	v_fma_f32 v3, -v4, v3, v0
	v_cmp_lt_f32_e64 s[0:1], 0, v3
	s_nop 1
	v_cndmask_b32_e64 v2, v2, v4, s[0:1]
	v_mul_f32_e32 v3, 0x37800000, v2
	v_cndmask_b32_e32 v2, v2, v3, vcc
	v_mov_b32_e32 v3, 0x260
	v_cmp_class_f32_e32 vcc, v0, v3
	s_nop 1
	v_cndmask_b32_e32 v0, v2, v0, vcc
	v_div_scale_f32 v2, s[0:1], v0, v0, v1
	v_rcp_f32_e32 v3, v2
	s_nop 0
	v_fma_f32 v4, -v2, v3, 1.0
	v_fmac_f32_e32 v3, v4, v3
	v_div_scale_f32 v4, vcc, v1, v0, v1
	v_mul_f32_e32 v5, v4, v3
	v_fma_f32 v6, -v2, v5, v4
	v_fmac_f32_e32 v5, v6, v3
	v_fma_f32 v2, -v2, v5, v4
	v_div_fmas_f32 v2, v2, v3, v5
	v_div_fixup_f32 v0, v2, v0, v1
                                        ; implicit-def: $vgpr4
                                        ; implicit-def: $vgpr2
                                        ; implicit-def: $vgpr1
.LBB18_952:
	s_andn2_saveexec_b64 s[20:21], s[20:21]
	s_cbranch_execz .LBB18_954
; %bb.953:
	s_mov_b32 s0, 0xf800000
	s_mov_b32 s1, 0x4f800000
	v_mul_f32_e64 v0, |v4|, s1
	v_cmp_lt_f32_e64 vcc, |v4|, s0
	v_mul_f32_e32 v2, -0.5, v2
	v_mul_f32_e32 v1, v1, v2
	v_cndmask_b32_e64 v0, |v4|, v0, vcc
	v_sqrt_f32_e32 v3, v0
	s_nop 0
	v_add_u32_e32 v4, -1, v3
	v_fma_f32 v5, -v4, v3, v0
	v_cmp_ge_f32_e64 s[0:1], 0, v5
	v_add_u32_e32 v5, 1, v3
	s_nop 0
	v_cndmask_b32_e64 v4, v3, v4, s[0:1]
	v_fma_f32 v3, -v5, v3, v0
	v_cmp_lt_f32_e64 s[0:1], 0, v3
	s_nop 1
	v_cndmask_b32_e64 v3, v4, v5, s[0:1]
	v_mul_f32_e32 v4, 0x37800000, v3
	v_cndmask_b32_e32 v3, v3, v4, vcc
	v_mov_b32_e32 v4, 0x260
	v_cmp_class_f32_e32 vcc, v0, v4
	s_nop 1
	v_cndmask_b32_e32 v0, v3, v0, vcc
	v_div_scale_f32 v2, s[0:1], v0, v0, v1
	v_rcp_f32_e32 v3, v2
	s_nop 0
	v_fma_f32 v4, -v2, v3, 1.0
	v_fmac_f32_e32 v3, v4, v3
	v_div_scale_f32 v4, vcc, v1, v0, v1
	v_mul_f32_e32 v5, v4, v3
	v_fma_f32 v6, -v2, v5, v4
	v_fmac_f32_e32 v5, v6, v3
	v_fma_f32 v2, -v2, v5, v4
	v_div_fmas_f32 v2, v2, v3, v5
	v_div_fixup_f32 v0, v2, v0, v1
.LBB18_954:
	s_or_b64 exec, exec, s[20:21]
.LBB18_955:
	s_or_b64 exec, exec, s[18:19]
	v_mul_lo_u32 v2, v8, s8
	v_ashrrev_i32_e32 v3, 31, v2
	s_and_b32 s26, s33, 0xff
	s_cmp_lt_i32 s26, 11
	v_lshl_add_u64 v[2:3], s[4:5], 0, v[2:3]
	s_cbranch_scc1 .LBB18_975
; %bb.956:
	s_and_b32 s27, 0xffff, s26
	s_mov_b64 s[20:21], -1
	s_cmp_gt_i32 s27, 25
	s_mov_b64 s[0:1], s[12:13]
	s_cbranch_scc0 .LBB18_993
; %bb.957:
	s_mov_b64 s[18:19], -1
	s_cmp_gt_i32 s27, 28
	s_mov_b64 s[0:1], s[12:13]
	s_cbranch_scc0 .LBB18_977
; %bb.958:
	s_cmp_gt_i32 s27, 43
	s_mov_b64 s[0:1], s[12:13]
	s_cbranch_scc0 .LBB18_969
; %bb.959:
	;; [unrolled: 4-line block ×3, first 2 shown]
	s_cmp_eq_u32 s27, 46
	s_mov_b64 s[0:1], -1
	s_cbranch_scc0 .LBB18_962
; %bb.961:
	v_bfe_u32 v1, v0, 16, 1
	s_movk_i32 s0, 0x7fff
	v_add3_u32 v1, v0, v1, s0
	v_cmp_o_f32_e32 vcc, v0, v0
	v_mov_b32_e32 v4, 0x7fc0
	s_mov_b64 s[0:1], 0
	v_cndmask_b32_sdwa v1, v4, v1, vcc dst_sel:DWORD dst_unused:UNUSED_PAD src0_sel:DWORD src1_sel:WORD_1
	global_store_dword v[2:3], v1, off
.LBB18_962:
	s_mov_b64 s[18:19], 0
.LBB18_963:
	s_and_b64 vcc, exec, s[18:19]
	s_cbranch_vccz .LBB18_968
; %bb.964:
	s_cmp_eq_u32 s27, 44
	s_mov_b64 s[0:1], -1
	s_cbranch_scc0 .LBB18_968
; %bb.965:
	v_bfe_u32 v1, v0, 23, 8
	s_movk_i32 s0, 0xff
	v_cmp_ne_u32_e32 vcc, s0, v1
	v_mov_b32_e32 v4, 0xff
	s_and_saveexec_b64 s[18:19], vcc
; %bb.966:
	s_mov_b32 s0, 0x3fffff
	v_and_b32_e32 v5, 0x400000, v0
	v_and_or_b32 v1, v0, s0, v1
	v_cmp_ne_u32_e32 vcc, 0, v5
	v_cmp_ne_u32_e64 s[0:1], 0, v1
	s_and_b64 s[0:1], vcc, s[0:1]
	v_lshrrev_b32_e32 v4, 23, v0
	v_cndmask_b32_e64 v1, 0, 1, s[0:1]
	v_add_u32_e32 v4, v4, v1
; %bb.967:
	s_or_b64 exec, exec, s[18:19]
	s_mov_b64 s[0:1], 0
	global_store_byte v[2:3], v4, off
.LBB18_968:
	s_mov_b64 s[18:19], 0
.LBB18_969:
	s_and_b64 vcc, exec, s[18:19]
	s_cbranch_vccz .LBB18_976
; %bb.970:
	s_cmp_eq_u32 s27, 29
	s_mov_b64 s[0:1], -1
	s_cbranch_scc0 .LBB18_976
; %bb.971:
	v_trunc_f32_e32 v1, v0
	v_mul_f32_e32 v4, 0x2f800000, v1
	v_floor_f32_e32 v4, v4
	v_fmamk_f32 v1, v4, 0xcf800000, v1
	v_cvt_u32_f32_e32 v5, v4
	v_cvt_u32_f32_e32 v4, v1
	s_mov_b64 s[0:1], 0
	s_mov_b64 s[18:19], 0
	global_store_dwordx2 v[2:3], v[4:5], off
	s_branch .LBB18_977
.LBB18_972:
	s_or_b64 exec, exec, s[14:15]
	s_and_saveexec_b64 s[0:1], s[12:13]
	s_cbranch_execnz .LBB18_1035
.LBB18_973:
	s_or_b64 exec, exec, s[0:1]
	s_and_saveexec_b64 s[0:1], s[20:21]
	s_xor_b64 s[0:1], exec, s[0:1]
	s_cbranch_execz .LBB18_1036
.LBB18_974:
	v_cmp_neq_f32_e32 vcc, 0, v0
	s_nop 1
	v_cndmask_b32_e64 v1, 0, 1, vcc
	s_waitcnt vmcnt(0)
	global_store_byte v[2:3], v1, off
	s_or_b64 exec, exec, s[0:1]
	s_and_saveexec_b64 s[0:1], s[18:19]
	s_xor_b64 s[0:1], exec, s[0:1]
	s_cbranch_execz .LBB18_1074
	s_branch .LBB18_1037
.LBB18_975:
	s_mov_b64 s[20:21], 0
	s_mov_b64 s[18:19], -1
	s_mov_b64 s[0:1], s[12:13]
	s_branch .LBB18_1034
.LBB18_976:
	s_mov_b64 s[18:19], 0
.LBB18_977:
	s_and_b64 vcc, exec, s[18:19]
	s_cbranch_vccz .LBB18_992
; %bb.978:
	s_cmp_lt_i32 s27, 27
	s_mov_b64 s[18:19], -1
	s_cbranch_scc1 .LBB18_984
; %bb.979:
	v_cvt_u32_f32_e32 v1, v0
	s_cmp_gt_i32 s27, 27
	s_cbranch_scc0 .LBB18_981
; %bb.980:
	s_mov_b64 s[18:19], 0
	global_store_dword v[2:3], v1, off
.LBB18_981:
	s_andn2_b64 vcc, exec, s[18:19]
	s_cbranch_vccnz .LBB18_983
; %bb.982:
	global_store_short v[2:3], v1, off
.LBB18_983:
	s_mov_b64 s[18:19], 0
.LBB18_984:
	s_andn2_b64 vcc, exec, s[18:19]
	s_cbranch_vccnz .LBB18_992
; %bb.985:
	v_and_b32_e32 v1, 0x7fffffff, v0
	s_mov_b32 s18, 0x43800000
	v_cmp_gt_u32_e32 vcc, s18, v1
	v_mov_b32_e32 v4, 0x80
	s_and_saveexec_b64 s[18:19], vcc
	s_cbranch_execz .LBB18_991
; %bb.986:
	s_mov_b32 s20, 0x3bffffff
	v_cmp_lt_u32_e32 vcc, s20, v1
	s_mov_b64 s[20:21], 0
                                        ; implicit-def: $vgpr1
	s_and_saveexec_b64 s[22:23], vcc
	s_xor_b64 s[22:23], exec, s[22:23]
	s_cbranch_execz .LBB18_1089
; %bb.987:
	v_bfe_u32 v1, v0, 20, 1
	s_mov_b32 s24, 0x487ffff
	v_add3_u32 v1, v0, v1, s24
	s_mov_b64 s[20:21], exec
	v_lshrrev_b32_e32 v1, 20, v1
	s_andn2_saveexec_b64 s[22:23], s[22:23]
	s_cbranch_execnz .LBB18_1090
.LBB18_988:
	s_or_b64 exec, exec, s[22:23]
	v_mov_b32_e32 v4, 0
	s_and_saveexec_b64 s[22:23], s[20:21]
.LBB18_989:
	v_lshrrev_b32_e32 v4, 24, v0
	s_movk_i32 s20, 0x80
	v_and_or_b32 v4, v4, s20, v1
.LBB18_990:
	s_or_b64 exec, exec, s[22:23]
.LBB18_991:
	s_or_b64 exec, exec, s[18:19]
	global_store_byte v[2:3], v4, off
.LBB18_992:
	s_mov_b64 s[20:21], 0
.LBB18_993:
	s_mov_b64 s[18:19], 0
	s_and_b64 vcc, exec, s[20:21]
	s_cbranch_vccz .LBB18_1033
; %bb.994:
	s_cmp_gt_i32 s27, 22
	s_mov_b64 s[20:21], -1
	s_cbranch_scc0 .LBB18_1026
; %bb.995:
	s_cmp_lt_i32 s27, 24
	s_cbranch_scc1 .LBB18_1015
; %bb.996:
	s_cmp_gt_i32 s27, 24
	s_cbranch_scc0 .LBB18_1004
; %bb.997:
	v_and_b32_e32 v1, 0x7fffffff, v0
	s_mov_b32 s20, 0x47800000
	v_cmp_gt_u32_e32 vcc, s20, v1
	v_mov_b32_e32 v4, 0x80
	s_and_saveexec_b64 s[20:21], vcc
	s_cbranch_execz .LBB18_1003
; %bb.998:
	s_mov_b32 s22, 0x37ffffff
	v_cmp_lt_u32_e32 vcc, s22, v1
	s_mov_b64 s[22:23], 0
                                        ; implicit-def: $vgpr1
	s_and_saveexec_b64 s[24:25], vcc
	s_xor_b64 s[24:25], exec, s[24:25]
	s_cbranch_execz .LBB18_1226
; %bb.999:
	v_bfe_u32 v1, v0, 21, 1
	s_mov_b32 s28, 0x88fffff
	v_add3_u32 v1, v0, v1, s28
	s_mov_b64 s[22:23], exec
	v_lshrrev_b32_e32 v1, 21, v1
	s_andn2_saveexec_b64 s[24:25], s[24:25]
	s_cbranch_execnz .LBB18_1227
.LBB18_1000:
	s_or_b64 exec, exec, s[24:25]
	v_mov_b32_e32 v4, 0
	s_and_saveexec_b64 s[24:25], s[22:23]
.LBB18_1001:
	v_lshrrev_b32_e32 v4, 24, v0
	s_movk_i32 s22, 0x80
	v_and_or_b32 v4, v4, s22, v1
.LBB18_1002:
	s_or_b64 exec, exec, s[24:25]
.LBB18_1003:
	s_or_b64 exec, exec, s[20:21]
	s_mov_b64 s[20:21], 0
	global_store_byte v[2:3], v4, off
.LBB18_1004:
	s_and_b64 vcc, exec, s[20:21]
	s_cbranch_vccz .LBB18_1014
; %bb.1005:
	v_and_b32_e32 v4, 0x7fffffff, v0
	s_mov_b32 s20, 0x43f00000
	v_cmp_gt_u32_e32 vcc, s20, v4
                                        ; implicit-def: $vgpr1
	s_and_saveexec_b64 s[20:21], vcc
	s_xor_b64 s[20:21], exec, s[20:21]
	s_cbranch_execz .LBB18_1011
; %bb.1006:
	s_mov_b32 s22, 0x3c7fffff
	v_cmp_lt_u32_e32 vcc, s22, v4
                                        ; implicit-def: $vgpr1
	s_and_saveexec_b64 s[22:23], vcc
	s_xor_b64 s[22:23], exec, s[22:23]
; %bb.1007:
	v_bfe_u32 v1, v0, 20, 1
	s_mov_b32 s24, 0x407ffff
	v_add3_u32 v1, v0, v1, s24
	v_lshrrev_b32_e32 v4, 20, v1
	v_and_b32_e32 v1, 0xff00000, v1
	s_mov_b32 s24, 0x7f00000
	v_mov_b32_e32 v5, 0x7e
	v_cmp_ne_u32_e32 vcc, s24, v1
	s_nop 1
	v_cndmask_b32_e32 v1, v5, v4, vcc
; %bb.1008:
	s_andn2_saveexec_b64 s[22:23], s[22:23]
; %bb.1009:
	s_mov_b32 s24, 0x46800000
	v_add_f32_e64 v1, |v0|, s24
; %bb.1010:
	s_or_b64 exec, exec, s[22:23]
                                        ; implicit-def: $vgpr4
.LBB18_1011:
	s_andn2_saveexec_b64 s[20:21], s[20:21]
; %bb.1012:
	s_mov_b32 s22, 0x7f800000
	v_mov_b32_e32 v1, 0x7e
	v_mov_b32_e32 v5, 0x7f
	v_cmp_lt_u32_e32 vcc, s22, v4
	s_nop 1
	v_cndmask_b32_e32 v1, v1, v5, vcc
; %bb.1013:
	s_or_b64 exec, exec, s[20:21]
	v_lshrrev_b32_e32 v4, 24, v0
	s_movk_i32 s20, 0x80
	v_and_or_b32 v1, v4, s20, v1
	global_store_byte v[2:3], v1, off
.LBB18_1014:
	s_mov_b64 s[20:21], 0
.LBB18_1015:
	s_andn2_b64 vcc, exec, s[20:21]
	s_cbranch_vccnz .LBB18_1025
; %bb.1016:
	v_and_b32_e32 v4, 0x7fffffff, v0
	s_mov_b32 s20, 0x47800000
	v_cmp_gt_u32_e32 vcc, s20, v4
                                        ; implicit-def: $vgpr1
	s_and_saveexec_b64 s[20:21], vcc
	s_xor_b64 s[20:21], exec, s[20:21]
	s_cbranch_execz .LBB18_1022
; %bb.1017:
	s_mov_b32 s22, 0x387fffff
	v_cmp_lt_u32_e32 vcc, s22, v4
                                        ; implicit-def: $vgpr1
	s_and_saveexec_b64 s[22:23], vcc
	s_xor_b64 s[22:23], exec, s[22:23]
; %bb.1018:
	v_bfe_u32 v1, v0, 21, 1
	s_mov_b32 s24, 0x80fffff
	v_add3_u32 v1, v0, v1, s24
	v_lshrrev_b32_e32 v1, 21, v1
; %bb.1019:
	s_andn2_saveexec_b64 s[22:23], s[22:23]
; %bb.1020:
	s_mov_b32 s24, 0x43000000
	v_add_f32_e64 v1, |v0|, s24
; %bb.1021:
	s_or_b64 exec, exec, s[22:23]
                                        ; implicit-def: $vgpr4
.LBB18_1022:
	s_andn2_saveexec_b64 s[20:21], s[20:21]
; %bb.1023:
	s_mov_b32 s22, 0x7f800000
	v_mov_b32_e32 v1, 0x7c
	v_mov_b32_e32 v5, 0x7f
	v_cmp_lt_u32_e32 vcc, s22, v4
	s_nop 1
	v_cndmask_b32_e32 v1, v1, v5, vcc
; %bb.1024:
	s_or_b64 exec, exec, s[20:21]
	v_lshrrev_b32_e32 v4, 24, v0
	s_movk_i32 s20, 0x80
	v_and_or_b32 v1, v4, s20, v1
	global_store_byte v[2:3], v1, off
.LBB18_1025:
	s_mov_b64 s[20:21], 0
.LBB18_1026:
	s_andn2_b64 vcc, exec, s[20:21]
	s_mov_b64 s[20:21], 0
	s_cbranch_vccnz .LBB18_1034
; %bb.1027:
	s_cmp_gt_i32 s27, 14
	s_mov_b64 s[22:23], -1
	s_cbranch_scc0 .LBB18_1031
; %bb.1028:
	s_cmp_eq_u32 s27, 15
	s_mov_b64 s[0:1], -1
	s_cbranch_scc0 .LBB18_1030
; %bb.1029:
	v_bfe_u32 v1, v0, 16, 1
	s_movk_i32 s0, 0x7fff
	v_add3_u32 v1, v0, v1, s0
	v_cmp_o_f32_e32 vcc, v0, v0
	v_mov_b32_e32 v4, 0x7fc0
	s_mov_b64 s[0:1], 0
	v_cndmask_b32_sdwa v1, v4, v1, vcc dst_sel:DWORD dst_unused:UNUSED_PAD src0_sel:DWORD src1_sel:WORD_1
	global_store_short v[2:3], v1, off
.LBB18_1030:
	s_mov_b64 s[22:23], 0
.LBB18_1031:
	s_and_b64 vcc, exec, s[22:23]
	s_cbranch_vccz .LBB18_1034
; %bb.1032:
	s_cmp_lg_u32 s27, 11
	s_cselect_b64 s[22:23], -1, 0
	s_andn2_b64 s[0:1], s[0:1], exec
	s_and_b64 s[22:23], s[22:23], exec
	s_mov_b64 s[20:21], -1
	s_or_b64 s[0:1], s[0:1], s[22:23]
	s_branch .LBB18_1034
.LBB18_1033:
	s_mov_b64 s[20:21], 0
.LBB18_1034:
	s_andn2_b64 s[12:13], s[12:13], exec
	s_and_b64 s[0:1], s[0:1], exec
	s_and_b64 s[18:19], s[18:19], exec
	;; [unrolled: 1-line block ×3, first 2 shown]
	s_or_b64 s[12:13], s[12:13], s[0:1]
	s_or_b64 exec, exec, s[14:15]
	s_and_saveexec_b64 s[0:1], s[12:13]
	s_cbranch_execz .LBB18_973
.LBB18_1035:
	s_or_b64 s[16:17], s[16:17], exec
	s_andn2_b64 s[20:21], s[20:21], exec
	s_trap 2
	s_or_b64 exec, exec, s[0:1]
	s_and_saveexec_b64 s[0:1], s[20:21]
	s_xor_b64 s[0:1], exec, s[0:1]
	s_cbranch_execnz .LBB18_974
.LBB18_1036:
	s_or_b64 exec, exec, s[0:1]
	s_and_saveexec_b64 s[0:1], s[18:19]
	s_xor_b64 s[0:1], exec, s[0:1]
	s_cbranch_execz .LBB18_1074
.LBB18_1037:
	s_sext_i32_i16 s14, s26
	s_cmp_lt_i32 s14, 5
	s_mov_b64 s[12:13], -1
	s_cbranch_scc1 .LBB18_1058
; %bb.1038:
	s_cmp_lt_i32 s14, 8
	s_cbranch_scc1 .LBB18_1048
; %bb.1039:
	s_cmp_lt_i32 s14, 9
	s_cbranch_scc1 .LBB18_1045
; %bb.1040:
	s_cmp_gt_i32 s14, 9
	s_cbranch_scc0 .LBB18_1042
; %bb.1041:
	v_mov_b32_e32 v6, 0
	s_waitcnt vmcnt(0)
	v_cvt_f64_f32_e32 v[4:5], v0
	v_mov_b32_e32 v7, v6
	s_mov_b64 s[12:13], 0
	global_store_dwordx4 v[2:3], v[4:7], off
.LBB18_1042:
	s_andn2_b64 vcc, exec, s[12:13]
	s_cbranch_vccnz .LBB18_1044
; %bb.1043:
	v_mov_b32_e32 v1, 0
	s_waitcnt vmcnt(0)
	global_store_dwordx2 v[2:3], v[0:1], off
.LBB18_1044:
	s_mov_b64 s[12:13], 0
.LBB18_1045:
	s_andn2_b64 vcc, exec, s[12:13]
	s_cbranch_vccnz .LBB18_1047
; %bb.1046:
	v_cvt_f16_f32_e32 v1, v0
	s_waitcnt vmcnt(0)
	global_store_dword v[2:3], v1, off
.LBB18_1047:
	s_mov_b64 s[12:13], 0
.LBB18_1048:
	s_andn2_b64 vcc, exec, s[12:13]
	s_cbranch_vccnz .LBB18_1057
; %bb.1049:
	s_sext_i32_i16 s14, s26
	s_cmp_lt_i32 s14, 6
	s_mov_b64 s[12:13], -1
	s_cbranch_scc1 .LBB18_1055
; %bb.1050:
	s_cmp_gt_i32 s14, 6
	s_cbranch_scc0 .LBB18_1052
; %bb.1051:
	s_waitcnt vmcnt(0)
	v_cvt_f64_f32_e32 v[4:5], v0
	s_mov_b64 s[12:13], 0
	global_store_dwordx2 v[2:3], v[4:5], off
.LBB18_1052:
	s_andn2_b64 vcc, exec, s[12:13]
	s_cbranch_vccnz .LBB18_1054
; %bb.1053:
	s_waitcnt vmcnt(0)
	global_store_dword v[2:3], v0, off
.LBB18_1054:
	s_mov_b64 s[12:13], 0
.LBB18_1055:
	s_andn2_b64 vcc, exec, s[12:13]
	s_cbranch_vccnz .LBB18_1057
; %bb.1056:
	v_cvt_f16_f32_e32 v1, v0
	s_waitcnt vmcnt(0)
	global_store_short v[2:3], v1, off
.LBB18_1057:
	s_mov_b64 s[12:13], 0
.LBB18_1058:
	s_andn2_b64 vcc, exec, s[12:13]
	s_cbranch_vccnz .LBB18_1074
; %bb.1059:
	s_sext_i32_i16 s14, s26
	s_cmp_lt_i32 s14, 2
	s_mov_b64 s[12:13], -1
	s_cbranch_scc1 .LBB18_1069
; %bb.1060:
	s_cmp_lt_i32 s14, 3
	s_cbranch_scc1 .LBB18_1066
; %bb.1061:
	s_cmp_gt_i32 s14, 3
	s_cbranch_scc0 .LBB18_1063
; %bb.1062:
	v_trunc_f32_e32 v1, v0
	s_mov_b32 s12, 0x2f800000
	s_waitcnt vmcnt(0)
	v_mul_f32_e64 v4, |v1|, s12
	v_floor_f32_e32 v4, v4
	s_mov_b32 s12, 0xcf800000
	v_cvt_u32_f32_e32 v5, v4
	v_fma_f32 v4, v4, s12, |v1|
	v_cvt_u32_f32_e32 v4, v4
	v_ashrrev_i32_e32 v1, 31, v1
	v_xor_b32_e32 v5, v5, v1
	s_mov_b64 s[12:13], 0
	v_xor_b32_e32 v4, v4, v1
	v_sub_co_u32_e32 v4, vcc, v4, v1
	s_nop 1
	v_subb_co_u32_e32 v5, vcc, v5, v1, vcc
	global_store_dwordx2 v[2:3], v[4:5], off
.LBB18_1063:
	s_andn2_b64 vcc, exec, s[12:13]
	s_cbranch_vccnz .LBB18_1065
; %bb.1064:
	v_cvt_i32_f32_e32 v1, v0
	s_waitcnt vmcnt(0)
	global_store_dword v[2:3], v1, off
.LBB18_1065:
	s_mov_b64 s[12:13], 0
.LBB18_1066:
	s_andn2_b64 vcc, exec, s[12:13]
	s_cbranch_vccnz .LBB18_1068
; %bb.1067:
	v_cvt_i32_f32_e32 v1, v0
	s_waitcnt vmcnt(0)
	global_store_short v[2:3], v1, off
.LBB18_1068:
	s_mov_b64 s[12:13], 0
.LBB18_1069:
	s_andn2_b64 vcc, exec, s[12:13]
	s_cbranch_vccnz .LBB18_1074
; %bb.1070:
	s_sext_i32_i16 s12, s26
	s_cmp_gt_i32 s12, 0
	s_mov_b64 s[12:13], -1
	s_cbranch_scc0 .LBB18_1072
; %bb.1071:
	v_cvt_i32_f32_e32 v1, v0
	s_mov_b64 s[12:13], 0
	s_waitcnt vmcnt(0)
	global_store_byte v[2:3], v1, off
.LBB18_1072:
	s_andn2_b64 vcc, exec, s[12:13]
	s_cbranch_vccnz .LBB18_1074
; %bb.1073:
	v_trunc_f32_e32 v0, v0
	s_mov_b32 s12, 0x2f800000
	v_mul_f32_e64 v1, |v0|, s12
	v_floor_f32_e32 v1, v1
	s_mov_b32 s12, 0xcf800000
	v_fma_f32 v1, v1, s12, |v0|
	v_cvt_u32_f32_e32 v1, v1
	v_ashrrev_i32_e32 v0, 31, v0
	v_xor_b32_e32 v1, v1, v0
	v_sub_u32_e32 v0, v1, v0
	s_waitcnt vmcnt(0)
	global_store_byte v[2:3], v0, off
.LBB18_1074:
	s_or_b64 exec, exec, s[0:1]
	s_and_b64 s[12:13], s[16:17], exec
                                        ; implicit-def: $vgpr8
.LBB18_1075:
	s_or_saveexec_b64 s[2:3], s[2:3]
	s_mov_b64 s[0:1], 0
                                        ; implicit-def: $sgpr20
                                        ; implicit-def: $vgpr0_vgpr1
                                        ; implicit-def: $vgpr6
	s_xor_b64 exec, exec, s[2:3]
	s_cbranch_execz .LBB18_1717
; %bb.1076:
	s_waitcnt vmcnt(0)
	v_mul_lo_u32 v2, s9, v8
	v_ashrrev_i32_e32 v3, 31, v2
	s_and_b32 s22, 0xffff, s42
	s_cmp_lt_i32 s22, 11
	v_lshl_add_u64 v[0:1], s[6:7], 0, v[2:3]
	s_cbranch_scc1 .LBB18_1083
; %bb.1077:
	s_cmp_gt_i32 s22, 25
	s_cbranch_scc0 .LBB18_1085
; %bb.1078:
	s_cmp_gt_i32 s22, 28
	s_cbranch_scc0 .LBB18_1086
	;; [unrolled: 3-line block ×4, first 2 shown]
; %bb.1081:
	s_cmp_eq_u32 s22, 46
	s_mov_b64 s[14:15], 0
	s_cbranch_scc0 .LBB18_1091
; %bb.1082:
	global_load_dword v3, v[0:1], off
	s_mov_b64 s[16:17], -1
	s_waitcnt vmcnt(0)
	v_lshlrev_b32_e32 v3, 16, v3
	s_branch .LBB18_1092
.LBB18_1083:
	s_mov_b64 s[16:17], 0
                                        ; implicit-def: $vgpr3
	s_mov_b64 s[14:15], s[12:13]
	s_cbranch_execnz .LBB18_1155
.LBB18_1084:
	s_andn2_b64 vcc, exec, s[16:17]
	s_cbranch_vccz .LBB18_1200
	s_branch .LBB18_1714
.LBB18_1085:
	s_mov_b64 s[16:17], 0
                                        ; implicit-def: $vgpr3
	s_cbranch_execnz .LBB18_1120
	s_branch .LBB18_1151
.LBB18_1086:
	s_mov_b64 s[14:15], -1
	s_mov_b64 s[16:17], 0
                                        ; implicit-def: $vgpr3
	s_branch .LBB18_1101
.LBB18_1087:
	s_mov_b64 s[16:17], 0
                                        ; implicit-def: $vgpr3
	s_cbranch_execnz .LBB18_1097
	s_branch .LBB18_1100
.LBB18_1088:
	s_mov_b64 s[14:15], -1
	s_mov_b64 s[16:17], 0
                                        ; implicit-def: $vgpr3
	s_branch .LBB18_1092
.LBB18_1089:
	s_andn2_saveexec_b64 s[22:23], s[22:23]
	s_cbranch_execz .LBB18_988
.LBB18_1090:
	s_mov_b32 s24, 0x46000000
	v_add_f32_e64 v1, |v0|, s24
	v_and_b32_e32 v1, 0xff, v1
	v_cmp_ne_u32_e32 vcc, 0, v1
	s_andn2_b64 s[20:21], s[20:21], exec
	s_and_b64 s[24:25], vcc, exec
	s_or_b64 s[20:21], s[20:21], s[24:25]
	s_or_b64 exec, exec, s[22:23]
	v_mov_b32_e32 v4, 0
	s_and_saveexec_b64 s[22:23], s[20:21]
	s_cbranch_execnz .LBB18_989
	s_branch .LBB18_990
.LBB18_1091:
	s_mov_b64 s[0:1], -1
                                        ; implicit-def: $vgpr3
	s_mov_b64 s[16:17], 0
.LBB18_1092:
	s_and_b64 vcc, exec, s[14:15]
	s_cbranch_vccz .LBB18_1095
; %bb.1093:
	s_cmp_eq_u32 s22, 44
	s_cbranch_scc0 .LBB18_1096
; %bb.1094:
	global_load_ubyte v3, v[0:1], off
	s_movk_i32 s14, 0xff
	v_mov_b32_e32 v4, 0x7f800001
	v_mov_b32_e32 v5, 0x400000
	s_mov_b64 s[0:1], 0
	s_mov_b64 s[16:17], -1
	s_waitcnt vmcnt(0)
	v_lshlrev_b32_e32 v6, 23, v3
	v_cmp_ne_u32_e32 vcc, s14, v3
	s_nop 1
	v_cndmask_b32_e32 v4, v4, v6, vcc
	v_cmp_ne_u32_e32 vcc, 0, v3
	s_nop 1
	v_cndmask_b32_e32 v3, v5, v4, vcc
.LBB18_1095:
	s_branch .LBB18_1100
.LBB18_1096:
	s_mov_b64 s[0:1], -1
                                        ; implicit-def: $vgpr3
	s_branch .LBB18_1100
.LBB18_1097:
	s_cmp_eq_u32 s22, 29
	s_cbranch_scc0 .LBB18_1099
; %bb.1098:
	global_load_dwordx2 v[4:5], v[0:1], off
	s_mov_b64 s[0:1], 0
	s_mov_b64 s[16:17], -1
	s_mov_b64 s[14:15], 0
	s_waitcnt vmcnt(0)
	v_ffbh_u32_e32 v3, v5
	v_min_u32_e32 v3, 32, v3
	v_lshlrev_b64 v[4:5], v3, v[4:5]
	v_min_u32_e32 v4, 1, v4
	v_or_b32_e32 v4, v5, v4
	v_cvt_f32_u32_e32 v4, v4
	v_sub_u32_e32 v3, 32, v3
	v_ldexp_f32 v3, v4, v3
	s_branch .LBB18_1101
.LBB18_1099:
	s_mov_b64 s[0:1], -1
                                        ; implicit-def: $vgpr3
.LBB18_1100:
	s_mov_b64 s[14:15], 0
.LBB18_1101:
	s_and_b64 vcc, exec, s[14:15]
	s_cbranch_vccz .LBB18_1119
; %bb.1102:
	s_cmp_lt_i32 s22, 27
	s_cbranch_scc1 .LBB18_1105
; %bb.1103:
	s_cmp_gt_i32 s22, 27
	s_cbranch_scc0 .LBB18_1106
; %bb.1104:
	global_load_dword v3, v[0:1], off
	s_mov_b64 s[14:15], 0
	s_waitcnt vmcnt(0)
	v_cvt_f32_u32_e32 v3, v3
	s_branch .LBB18_1107
.LBB18_1105:
	s_mov_b64 s[14:15], -1
                                        ; implicit-def: $vgpr3
	s_branch .LBB18_1110
.LBB18_1106:
	s_mov_b64 s[14:15], -1
                                        ; implicit-def: $vgpr3
.LBB18_1107:
	s_andn2_b64 vcc, exec, s[14:15]
	s_cbranch_vccnz .LBB18_1109
; %bb.1108:
	global_load_ushort v3, v[0:1], off
	s_waitcnt vmcnt(0)
	v_cvt_f32_u32_e32 v3, v3
.LBB18_1109:
	s_mov_b64 s[14:15], 0
.LBB18_1110:
	s_andn2_b64 vcc, exec, s[14:15]
	s_cbranch_vccnz .LBB18_1118
; %bb.1111:
	global_load_ubyte v4, v[0:1], off
	s_movk_i32 s14, 0x7f
	s_waitcnt vmcnt(0)
	v_cmp_lt_i16_e32 vcc, s14, v4
	s_mov_b64 s[14:15], 0
	s_and_saveexec_b64 s[16:17], vcc
	s_xor_b64 s[16:17], exec, s[16:17]
	s_cbranch_execz .LBB18_1131
; %bb.1112:
	s_movk_i32 s14, 0x80
	v_cmp_eq_u16_e32 vcc, s14, v4
	s_mov_b64 s[14:15], -1
	s_and_saveexec_b64 s[18:19], vcc
; %bb.1113:
	s_xor_b64 s[14:15], exec, -1
; %bb.1114:
	s_or_b64 exec, exec, s[18:19]
	s_and_b64 s[14:15], s[14:15], exec
	s_or_saveexec_b64 s[16:17], s[16:17]
	v_mov_b32_e32 v3, 0x7f800001
	s_xor_b64 exec, exec, s[16:17]
	s_cbranch_execnz .LBB18_1132
.LBB18_1115:
	s_or_b64 exec, exec, s[16:17]
	s_and_saveexec_b64 s[16:17], s[14:15]
	s_cbranch_execz .LBB18_1117
.LBB18_1116:
	v_lshlrev_b32_e32 v3, 24, v4
	v_and_b32_e32 v4, 0xffff, v4
	v_and_b32_e32 v5, 7, v4
	v_ffbh_u32_e32 v7, v5
	v_min_u32_e32 v7, 32, v7
	v_subrev_u32_e32 v9, 28, v7
	v_bfe_u32 v6, v4, 3, 4
	v_lshlrev_b32_e32 v4, v9, v4
	v_sub_u32_e32 v7, 29, v7
	v_and_b32_e32 v4, 7, v4
	v_cmp_eq_u32_e32 vcc, 0, v6
	v_and_b32_e32 v3, 0x80000000, v3
	s_nop 0
	v_cndmask_b32_e32 v6, v6, v7, vcc
	v_cndmask_b32_e32 v4, v5, v4, vcc
	v_mov_b32_e32 v5, 0x3b800000
	v_lshlrev_b32_e32 v4, 20, v4
	v_lshl_add_u32 v5, v6, 23, v5
	v_or3_b32 v3, v3, v5, v4
.LBB18_1117:
	s_or_b64 exec, exec, s[16:17]
.LBB18_1118:
	s_mov_b64 s[16:17], -1
.LBB18_1119:
	s_branch .LBB18_1151
.LBB18_1120:
	s_cmp_gt_i32 s22, 22
	s_cbranch_scc0 .LBB18_1130
; %bb.1121:
	s_cmp_lt_i32 s22, 24
	s_cbranch_scc1 .LBB18_1133
; %bb.1122:
	s_cmp_gt_i32 s22, 24
	s_cbranch_scc0 .LBB18_1134
; %bb.1123:
	global_load_ubyte v4, v[0:1], off
	s_movk_i32 s10, 0x7f
	s_waitcnt vmcnt(0)
	v_cmp_lt_i16_e32 vcc, s10, v4
	s_mov_b64 s[10:11], 0
	s_and_saveexec_b64 s[14:15], vcc
	s_xor_b64 s[14:15], exec, s[14:15]
	s_cbranch_execz .LBB18_1145
; %bb.1124:
	s_movk_i32 s10, 0x80
	v_cmp_eq_u16_e32 vcc, s10, v4
	s_mov_b64 s[10:11], -1
	s_and_saveexec_b64 s[16:17], vcc
; %bb.1125:
	s_xor_b64 s[10:11], exec, -1
; %bb.1126:
	s_or_b64 exec, exec, s[16:17]
	s_and_b64 s[10:11], s[10:11], exec
	s_or_saveexec_b64 s[14:15], s[14:15]
	v_mov_b32_e32 v3, 0x7f800001
	s_xor_b64 exec, exec, s[14:15]
	s_cbranch_execnz .LBB18_1146
.LBB18_1127:
	s_or_b64 exec, exec, s[14:15]
	s_and_saveexec_b64 s[14:15], s[10:11]
	s_cbranch_execz .LBB18_1129
.LBB18_1128:
	v_lshlrev_b32_e32 v3, 24, v4
	v_and_b32_e32 v4, 0xffff, v4
	v_and_b32_e32 v5, 3, v4
	v_ffbh_u32_e32 v7, v5
	v_min_u32_e32 v7, 32, v7
	v_subrev_u32_e32 v9, 29, v7
	v_bfe_u32 v6, v4, 2, 5
	v_lshlrev_b32_e32 v4, v9, v4
	v_sub_u32_e32 v7, 30, v7
	v_and_b32_e32 v4, 3, v4
	v_cmp_eq_u32_e32 vcc, 0, v6
	v_and_b32_e32 v3, 0x80000000, v3
	s_nop 0
	v_cndmask_b32_e32 v6, v6, v7, vcc
	v_cndmask_b32_e32 v4, v5, v4, vcc
	v_mov_b32_e32 v5, 0x37800000
	v_lshlrev_b32_e32 v4, 21, v4
	v_lshl_add_u32 v5, v6, 23, v5
	v_or3_b32 v3, v3, v5, v4
.LBB18_1129:
	s_or_b64 exec, exec, s[14:15]
	s_mov_b64 s[10:11], 0
	s_branch .LBB18_1135
.LBB18_1130:
                                        ; implicit-def: $vgpr3
	s_mov_b64 s[10:11], 0
	s_branch .LBB18_1141
.LBB18_1131:
	s_or_saveexec_b64 s[16:17], s[16:17]
	v_mov_b32_e32 v3, 0x7f800001
	s_xor_b64 exec, exec, s[16:17]
	s_cbranch_execz .LBB18_1115
.LBB18_1132:
	v_cmp_ne_u16_e32 vcc, 0, v4
	s_andn2_b64 s[14:15], s[14:15], exec
	s_and_b64 s[18:19], vcc, exec
	v_mov_b32_e32 v3, 0
	s_or_b64 s[14:15], s[14:15], s[18:19]
	s_or_b64 exec, exec, s[16:17]
	s_and_saveexec_b64 s[16:17], s[14:15]
	s_cbranch_execnz .LBB18_1116
	s_branch .LBB18_1117
.LBB18_1133:
	s_mov_b64 s[10:11], -1
                                        ; implicit-def: $vgpr3
	s_branch .LBB18_1138
.LBB18_1134:
	s_mov_b64 s[10:11], -1
                                        ; implicit-def: $vgpr3
.LBB18_1135:
	s_and_b64 vcc, exec, s[10:11]
	s_cbranch_vccz .LBB18_1137
; %bb.1136:
	global_load_ubyte v3, v[0:1], off
	s_mov_b32 s10, 0x7f800000
	s_waitcnt vmcnt(0)
	v_lshlrev_b32_e32 v3, 24, v3
	v_and_b32_e32 v4, 0x7f000000, v3
	v_ffbh_u32_e32 v5, v4
	v_min_u32_e32 v5, 32, v5
	v_sub_u32_e64 v5, v5, 4 clamp
	v_lshlrev_b32_e32 v7, v5, v4
	v_lshlrev_b32_e32 v5, 23, v5
	v_lshrrev_b32_e32 v7, 4, v7
	v_add_u32_e32 v6, 0x1000000, v4
	v_sub_u32_e32 v5, v7, v5
	v_ashrrev_i32_e32 v6, 8, v6
	v_add_u32_e32 v5, 0x3c000000, v5
	v_and_or_b32 v5, v6, s10, v5
	v_cmp_ne_u32_e32 vcc, 0, v4
	s_brev_b32 s10, 1
	s_nop 0
	v_cndmask_b32_e32 v4, 0, v5, vcc
	v_and_or_b32 v3, v3, s10, v4
.LBB18_1137:
	s_mov_b64 s[10:11], 0
.LBB18_1138:
	s_andn2_b64 vcc, exec, s[10:11]
	s_cbranch_vccnz .LBB18_1140
; %bb.1139:
	global_load_ubyte v3, v[0:1], off
	s_movk_i32 s10, 0x7f00
	s_brev_b32 s11, 16
	s_waitcnt vmcnt(0)
	v_lshlrev_b16_e32 v4, 8, v3
	v_lshlrev_b32_e32 v3, 25, v3
	v_lshrrev_b32_e32 v5, 4, v3
	v_and_or_b32 v6, v4, s10, 0.5
	v_or_b32_e32 v5, 0x70000000, v5
	v_add_f32_e32 v6, -0.5, v6
	v_mul_f32_e32 v5, 0x7800000, v5
	v_cmp_gt_u32_e32 vcc, s11, v3
	v_bfe_i32 v4, v4, 0, 16
	s_brev_b32 s10, 1
	v_cndmask_b32_e32 v3, v5, v6, vcc
	v_and_or_b32 v3, v4, s10, v3
.LBB18_1140:
	s_mov_b64 s[16:17], -1
	s_mov_b64 s[10:11], 0
	s_cbranch_execnz .LBB18_1151
.LBB18_1141:
	s_cmp_gt_i32 s22, 14
	s_cbranch_scc0 .LBB18_1144
; %bb.1142:
	s_cmp_eq_u32 s22, 15
	s_cbranch_scc0 .LBB18_1147
; %bb.1143:
	global_load_ushort v3, v[0:1], off
	s_mov_b64 s[0:1], 0
	s_mov_b64 s[16:17], -1
	s_waitcnt vmcnt(0)
	v_lshlrev_b32_e32 v3, 16, v3
	s_branch .LBB18_1148
.LBB18_1144:
	s_mov_b64 s[14:15], -1
                                        ; implicit-def: $vgpr3
	s_branch .LBB18_1149
.LBB18_1145:
	s_or_saveexec_b64 s[14:15], s[14:15]
	v_mov_b32_e32 v3, 0x7f800001
	s_xor_b64 exec, exec, s[14:15]
	s_cbranch_execz .LBB18_1127
.LBB18_1146:
	v_cmp_ne_u16_e32 vcc, 0, v4
	s_andn2_b64 s[10:11], s[10:11], exec
	s_and_b64 s[16:17], vcc, exec
	v_mov_b32_e32 v3, 0
	s_or_b64 s[10:11], s[10:11], s[16:17]
	s_or_b64 exec, exec, s[14:15]
	s_and_saveexec_b64 s[14:15], s[10:11]
	s_cbranch_execnz .LBB18_1128
	s_branch .LBB18_1129
.LBB18_1147:
	s_mov_b64 s[0:1], -1
                                        ; implicit-def: $vgpr3
.LBB18_1148:
	s_mov_b64 s[14:15], 0
.LBB18_1149:
	s_and_b64 vcc, exec, s[14:15]
	s_cbranch_vccz .LBB18_1151
; %bb.1150:
	s_cmp_lg_u32 s22, 11
	s_mov_b64 s[10:11], -1
	s_cselect_b64 s[0:1], -1, 0
.LBB18_1151:
	s_and_b64 vcc, exec, s[0:1]
	s_mov_b64 s[14:15], s[12:13]
	s_cbranch_vccnz .LBB18_1224
; %bb.1152:
	s_andn2_b64 vcc, exec, s[10:11]
	s_cbranch_vccnz .LBB18_1154
.LBB18_1153:
	global_load_ubyte v3, v[0:1], off
	s_mov_b64 s[16:17], -1
	s_waitcnt vmcnt(0)
	v_cmp_ne_u16_e32 vcc, 0, v3
	s_nop 1
	v_cndmask_b32_e64 v3, 0, 1.0, vcc
.LBB18_1154:
	s_branch .LBB18_1084
.LBB18_1155:
	s_cmp_lt_i32 s22, 5
	s_cbranch_scc1 .LBB18_1160
; %bb.1156:
	s_cmp_lt_i32 s22, 8
	s_cbranch_scc1 .LBB18_1161
; %bb.1157:
	;; [unrolled: 3-line block ×3, first 2 shown]
	s_cmp_gt_i32 s22, 9
	s_cbranch_scc0 .LBB18_1163
; %bb.1159:
	global_load_dwordx2 v[4:5], v[0:1], off
	s_mov_b64 s[0:1], 0
	s_waitcnt vmcnt(0)
	v_cvt_f32_f64_e32 v3, v[4:5]
	s_branch .LBB18_1164
.LBB18_1160:
                                        ; implicit-def: $vgpr3
	s_branch .LBB18_1181
.LBB18_1161:
                                        ; implicit-def: $vgpr3
	s_branch .LBB18_1170
.LBB18_1162:
	s_mov_b64 s[0:1], -1
                                        ; implicit-def: $vgpr3
	s_branch .LBB18_1167
.LBB18_1163:
	s_mov_b64 s[0:1], -1
                                        ; implicit-def: $vgpr3
.LBB18_1164:
	s_andn2_b64 vcc, exec, s[0:1]
	s_cbranch_vccnz .LBB18_1166
; %bb.1165:
	global_load_dword v3, v[0:1], off
.LBB18_1166:
	s_mov_b64 s[0:1], 0
.LBB18_1167:
	s_andn2_b64 vcc, exec, s[0:1]
	s_cbranch_vccnz .LBB18_1169
; %bb.1168:
	global_load_dword v3, v[0:1], off
	s_waitcnt vmcnt(0)
	v_cvt_f32_f16_e32 v3, v3
.LBB18_1169:
	s_cbranch_execnz .LBB18_1180
.LBB18_1170:
	s_cmp_lt_i32 s22, 6
	s_cbranch_scc1 .LBB18_1173
; %bb.1171:
	s_cmp_gt_i32 s22, 6
	s_cbranch_scc0 .LBB18_1174
; %bb.1172:
	global_load_dwordx2 v[4:5], v[0:1], off
	s_mov_b64 s[0:1], 0
	s_waitcnt vmcnt(0)
	v_cvt_f32_f64_e32 v3, v[4:5]
	s_branch .LBB18_1175
.LBB18_1173:
	s_mov_b64 s[0:1], -1
                                        ; implicit-def: $vgpr3
	s_branch .LBB18_1178
.LBB18_1174:
	s_mov_b64 s[0:1], -1
                                        ; implicit-def: $vgpr3
.LBB18_1175:
	s_andn2_b64 vcc, exec, s[0:1]
	s_cbranch_vccnz .LBB18_1177
; %bb.1176:
	global_load_dword v3, v[0:1], off
.LBB18_1177:
	s_mov_b64 s[0:1], 0
.LBB18_1178:
	s_andn2_b64 vcc, exec, s[0:1]
	s_cbranch_vccnz .LBB18_1180
; %bb.1179:
	global_load_ushort v3, v[0:1], off
	s_waitcnt vmcnt(0)
	v_cvt_f32_f16_e32 v3, v3
.LBB18_1180:
	s_cbranch_execnz .LBB18_1199
.LBB18_1181:
	s_cmp_lt_i32 s22, 2
	s_cbranch_scc1 .LBB18_1185
; %bb.1182:
	s_cmp_lt_i32 s22, 3
	s_cbranch_scc1 .LBB18_1186
; %bb.1183:
	s_cmp_gt_i32 s22, 3
	s_cbranch_scc0 .LBB18_1187
; %bb.1184:
	global_load_dwordx2 v[4:5], v[0:1], off
	s_mov_b64 s[0:1], 0
	s_waitcnt vmcnt(0)
	v_xor_b32_e32 v6, v4, v5
	v_ffbh_i32_e32 v3, v5
	v_ashrrev_i32_e32 v6, 31, v6
	v_add_u32_e32 v3, -1, v3
	v_add_u32_e32 v6, 32, v6
	v_min_u32_e32 v3, v3, v6
	v_lshlrev_b64 v[4:5], v3, v[4:5]
	v_min_u32_e32 v4, 1, v4
	v_or_b32_e32 v4, v5, v4
	v_cvt_f32_i32_e32 v4, v4
	v_sub_u32_e32 v3, 32, v3
	v_ldexp_f32 v3, v4, v3
	s_branch .LBB18_1188
.LBB18_1185:
                                        ; implicit-def: $vgpr3
	s_branch .LBB18_1194
.LBB18_1186:
	s_mov_b64 s[0:1], -1
                                        ; implicit-def: $vgpr3
	s_branch .LBB18_1191
.LBB18_1187:
	s_mov_b64 s[0:1], -1
                                        ; implicit-def: $vgpr3
.LBB18_1188:
	s_andn2_b64 vcc, exec, s[0:1]
	s_cbranch_vccnz .LBB18_1190
; %bb.1189:
	global_load_dword v3, v[0:1], off
	s_waitcnt vmcnt(0)
	v_cvt_f32_i32_e32 v3, v3
.LBB18_1190:
	s_mov_b64 s[0:1], 0
.LBB18_1191:
	s_andn2_b64 vcc, exec, s[0:1]
	s_cbranch_vccnz .LBB18_1193
; %bb.1192:
	global_load_sshort v3, v[0:1], off
	s_waitcnt vmcnt(0)
	v_cvt_f32_i32_e32 v3, v3
.LBB18_1193:
	s_cbranch_execnz .LBB18_1199
.LBB18_1194:
	s_cmp_gt_i32 s22, 0
	s_cbranch_scc0 .LBB18_1196
; %bb.1195:
	global_load_sbyte v3, v[0:1], off
	s_mov_b64 s[0:1], 0
	s_waitcnt vmcnt(0)
	v_cvt_f32_i32_e32 v3, v3
	s_branch .LBB18_1197
.LBB18_1196:
	s_mov_b64 s[0:1], -1
                                        ; implicit-def: $vgpr3
.LBB18_1197:
	s_andn2_b64 vcc, exec, s[0:1]
	s_cbranch_vccnz .LBB18_1199
; %bb.1198:
	global_load_ubyte v0, v[0:1], off
	s_waitcnt vmcnt(0)
	v_cvt_f32_ubyte0_e32 v3, v0
.LBB18_1199:
.LBB18_1200:
	s_mov_b32 s0, 0x41000000
	s_waitcnt vmcnt(0)
	v_cmp_le_f32_e64 s[0:1], |v3|, s0
                                        ; implicit-def: $vgpr0
	s_and_saveexec_b64 s[10:11], s[0:1]
	s_xor_b64 s[10:11], exec, s[10:11]
	s_cbranch_execz .LBB18_1206
; %bb.1201:
	v_fma_f32 v0, |v3|, 0.5, -2.0
	v_mov_b32_e32 v1, 0xa3c2be86
	v_fmac_f32_e32 v1, 0x224cf950, v0
	v_fmaak_f32 v4, v0, v1, 0xa24cf950
	v_add_f32_e32 v4, 0x25331f1f, v4
	v_fma_f32 v1, v0, v4, -v1
	v_add_f32_e32 v1, 0xa69f5554, v1
	v_fma_f32 v4, v0, v1, -v4
	v_add_f32_e32 v4, 0x2808ebf8, v4
	v_fma_f32 v1, v0, v4, -v1
	v_add_f32_e32 v1, 0xa9631471, v1
	v_fma_f32 v4, v0, v1, -v4
	v_add_f32_e32 v4, 0x2ab57bc2, v4
	v_fma_f32 v1, v0, v4, -v1
	v_add_f32_e32 v1, 0xac0b9c1b, v1
	v_fma_f32 v4, v0, v1, -v4
	v_add_f32_e32 v4, 0x2d4e7716, v4
	v_fma_f32 v1, v0, v4, -v1
	v_add_f32_e32 v1, 0xae92881d, v1
	v_fma_f32 v4, v0, v1, -v4
	v_add_f32_e32 v4, 0x2fc751a6, v4
	v_fma_f32 v1, v0, v4, -v1
	v_add_f32_e32 v1, 0xb101b0d9, v1
	v_fma_f32 v4, v0, v1, -v4
	v_add_f32_e32 v4, 0x32212c70, v4
	v_fma_f32 v1, v0, v4, -v1
	v_add_f32_e32 v1, 0xb33ee9f1, v1
	v_fma_f32 v4, v0, v1, -v4
	v_add_f32_e32 v4, 0x34571a26, v4
	v_fma_f32 v1, v0, v4, -v1
	v_add_f32_e32 v1, 0xb56603cc, v1
	v_fma_f32 v4, v0, v1, -v4
	v_add_f32_e32 v4, 0x3668e277, v4
	v_fma_f32 v1, v0, v4, -v1
	v_add_f32_e32 v1, 0xb75eafce, v1
	v_fma_f32 v4, v0, v1, -v4
	v_add_f32_e32 v4, 0x38488daa, v4
	v_fma_f32 v1, v0, v4, -v1
	v_add_f32_e32 v1, 0xb9299e57, v1
	v_fma_f32 v4, v0, v1, -v4
	v_add_f32_e32 v4, 0x3a064aee, v4
	v_fma_f32 v1, v0, v4, -v1
	v_add_f32_e32 v1, 0xbac66310, v1
	v_fma_f32 v4, v0, v1, -v4
	v_add_f32_e32 v4, 0x3b88329a, v4
	v_fma_f32 v1, v0, v4, -v1
	v_add_f32_e32 v1, 0xbc2d14fc, v1
	v_fma_f32 v4, v0, v1, -v4
	v_add_f32_e32 v4, 0x3cca8f1f, v4
	v_fma_f32 v1, v0, v4, -v1
	v_add_f32_e32 v1, 0xbd58dde3, v1
	v_fma_f32 v4, v0, v1, -v4
	v_add_f32_e32 v4, 0x3dd236d7, v4
	v_fma_f32 v1, v0, v4, -v1
	v_add_f32_e32 v1, 0xbe34a688, v1
	s_mov_b32 s0, 0x3fb8aa3b
	v_fma_f32 v0, v0, v1, -v4
	v_mul_f32_e64 v1, |v3|, s0
	v_rndne_f32_e32 v5, v1
	v_sub_f32_e32 v6, v1, v5
	v_fma_f32 v1, |v3|, s0, -v1
	s_mov_b32 s0, 0x32a5705f
	v_fma_f32 v1, |v3|, s0, v1
	v_add_f32_e32 v1, v6, v1
	v_exp_f32_e32 v6, v1
	v_cvt_i32_f32_e32 v5, v5
	v_add_f32_e32 v0, 0x3e81531c, v0
	v_sub_f32_e32 v0, v0, v4
	v_mul_f32_e32 v0, 0.5, v0
	s_mov_b32 s0, 0xc2ce8ed0
	v_mul_f32_e64 v1, |v3|, v0
	v_ldexp_f32 v0, v6, v5
	v_cmp_nlt_f32_e64 s[0:1], |v3|, s0
	v_mov_b32_e32 v4, 0x7f800000
	v_cmp_ngt_f32_e32 vcc, 0, v3
	v_cndmask_b32_e64 v0, 0, v0, s[0:1]
	s_mov_b32 s0, 0x42b17218
	v_cmp_ngt_f32_e64 s[0:1], |v3|, s0
	s_nop 1
	v_cndmask_b32_e64 v3, v4, v0, s[0:1]
                                        ; implicit-def: $vgpr0
	s_and_saveexec_b64 s[0:1], vcc
	s_xor_b64 s[0:1], exec, s[0:1]
; %bb.1202:
	v_mul_f32_e32 v0, v3, v1
                                        ; implicit-def: $vgpr3
                                        ; implicit-def: $vgpr1
; %bb.1203:
	s_andn2_saveexec_b64 s[0:1], s[0:1]
; %bb.1204:
	v_mul_f32_e64 v0, v1, -v3
; %bb.1205:
	s_or_b64 exec, exec, s[0:1]
                                        ; implicit-def: $vgpr3
.LBB18_1206:
	s_andn2_saveexec_b64 s[10:11], s[10:11]
	s_cbranch_execz .LBB18_1212
; %bb.1207:
	v_and_b32_e32 v0, 0x7fffffff, v3
	s_mov_b32 s16, 0x42000000
	v_div_scale_f32 v1, s[0:1], v0, v0, s16
	v_rcp_f32_e32 v4, v1
	v_div_scale_f32 v0, vcc, s16, v0, s16
	s_mov_b32 s0, 0x3fb8aa3b
	v_fma_f32 v5, -v1, v4, 1.0
	v_fmac_f32_e32 v4, v5, v4
	v_mul_f32_e32 v5, v0, v4
	v_fma_f32 v6, -v1, v5, v0
	v_fmac_f32_e32 v5, v6, v4
	v_fma_f32 v0, -v1, v5, v0
	v_div_fmas_f32 v0, v0, v4, v5
	v_div_fixup_f32 v0, v0, |v3|, s16
	v_add_f32_e32 v0, -2.0, v0
	v_mov_b32_e32 v1, 0x22a2dc57
	v_fmac_f32_e32 v1, 0x230aab6e, v0
	v_fmaak_f32 v4, v0, v1, 0xa30aab6e
	v_add_f32_e32 v4, 0xa456751e, v4
	v_fma_f32 v1, v0, v4, -v1
	v_add_f32_e32 v1, 0xa4140365, v1
	v_fma_f32 v4, v0, v1, -v4
	;; [unrolled: 2-line block ×17, first 2 shown]
	v_add_f32_e32 v1, 0xb2e20a9d, v1
	v_mul_f32_e64 v5, |v3|, s0
	v_fma_f32 v4, v0, v1, -v4
	v_rndne_f32_e32 v6, v5
	v_add_f32_e32 v4, 0xb486dfe9, v4
	v_sub_f32_e32 v7, v5, v6
	v_fma_f32 v5, |v3|, s0, -v5
	s_mov_b32 s0, 0x32a5705f
	v_fma_f32 v1, v0, v4, -v1
	v_fma_f32 v5, |v3|, s0, v5
	v_add_f32_e32 v1, 0xb68246fa, v1
	v_add_f32_e32 v5, v7, v5
	v_fma_f32 v4, v0, v1, -v4
	v_exp_f32_e32 v5, v5
	v_cvt_i32_f32_e32 v6, v6
	v_add_f32_e32 v4, 0xb8e7ebfc, v4
	v_fma_f32 v1, v0, v4, -v1
	v_add_f32_e32 v1, 0xbc1fed03, v1
	s_mov_b32 s0, 0xc2ce8ed0
	v_fma_f32 v0, v0, v1, -v4
	v_ldexp_f32 v1, v5, v6
	v_cmp_nlt_f32_e64 s[0:1], |v3|, s0
	v_add_f32_e32 v0, 0x3f4750c6, v0
	v_mov_b32_e32 v5, 0x7f800000
	v_cndmask_b32_e64 v1, 0, v1, s[0:1]
	s_mov_b32 s0, 0x42b17218
	v_cmp_ngt_f32_e64 s[0:1], |v3|, s0
	v_cmp_ngt_f32_e32 vcc, 0, v3
	v_sub_f32_e32 v4, v0, v4
	v_cndmask_b32_e64 v1, v5, v1, s[0:1]
                                        ; implicit-def: $vgpr0
	s_and_saveexec_b64 s[0:1], vcc
	s_xor_b64 s[16:17], exec, s[0:1]
	s_cbranch_execz .LBB18_1209
; %bb.1208:
	s_mov_b32 s0, 0xf800000
	s_mov_b32 s1, 0x4f800000
	v_mul_f32_e64 v0, |v3|, s1
	v_cmp_lt_f32_e64 vcc, |v3|, s0
	v_mul_f32_e32 v4, 0.5, v4
	v_mul_f32_e32 v1, v1, v4
	v_cndmask_b32_e64 v0, |v3|, v0, vcc
	v_sqrt_f32_e32 v3, v0
	s_nop 0
	v_add_u32_e32 v4, -1, v3
	v_fma_f32 v5, -v4, v3, v0
	v_cmp_ge_f32_e64 s[0:1], 0, v5
	v_add_u32_e32 v5, 1, v3
	s_nop 0
	v_cndmask_b32_e64 v4, v3, v4, s[0:1]
	v_fma_f32 v3, -v5, v3, v0
	v_cmp_lt_f32_e64 s[0:1], 0, v3
	s_nop 1
	v_cndmask_b32_e64 v3, v4, v5, s[0:1]
	v_mul_f32_e32 v4, 0x37800000, v3
	v_cndmask_b32_e32 v3, v3, v4, vcc
	v_mov_b32_e32 v4, 0x260
	v_cmp_class_f32_e32 vcc, v0, v4
	s_nop 1
	v_cndmask_b32_e32 v0, v3, v0, vcc
	v_div_scale_f32 v3, s[0:1], v0, v0, v1
	v_rcp_f32_e32 v4, v3
	s_nop 0
	v_fma_f32 v5, -v3, v4, 1.0
	v_fmac_f32_e32 v4, v5, v4
	v_div_scale_f32 v5, vcc, v1, v0, v1
	v_mul_f32_e32 v6, v5, v4
	v_fma_f32 v7, -v3, v6, v5
	v_fmac_f32_e32 v6, v7, v4
	v_fma_f32 v3, -v3, v6, v5
	v_div_fmas_f32 v3, v3, v4, v6
	v_div_fixup_f32 v0, v3, v0, v1
                                        ; implicit-def: $vgpr3
                                        ; implicit-def: $vgpr4
                                        ; implicit-def: $vgpr1
.LBB18_1209:
	s_andn2_saveexec_b64 s[16:17], s[16:17]
	s_cbranch_execz .LBB18_1211
; %bb.1210:
	s_mov_b32 s0, 0xf800000
	s_mov_b32 s1, 0x4f800000
	v_mul_f32_e64 v0, |v3|, s1
	v_cmp_lt_f32_e64 vcc, |v3|, s0
	s_nop 1
	v_cndmask_b32_e64 v0, |v3|, v0, vcc
	v_sqrt_f32_e32 v3, v0
	s_nop 0
	v_add_u32_e32 v5, -1, v3
	v_fma_f32 v6, -v5, v3, v0
	v_cmp_ge_f32_e64 s[0:1], 0, v6
	v_add_u32_e32 v6, 1, v3
	s_nop 0
	v_cndmask_b32_e64 v5, v3, v5, s[0:1]
	v_fma_f32 v3, -v6, v3, v0
	v_cmp_lt_f32_e64 s[0:1], 0, v3
	s_nop 1
	v_cndmask_b32_e64 v3, v5, v6, s[0:1]
	v_mul_f32_e32 v5, 0x37800000, v3
	v_cndmask_b32_e32 v3, v3, v5, vcc
	v_mov_b32_e32 v5, 0x260
	v_cmp_class_f32_e32 vcc, v0, v5
	s_nop 1
	v_cndmask_b32_e32 v0, v3, v0, vcc
	v_mul_f32_e32 v3, -0.5, v4
	v_mul_f32_e32 v1, v1, v3
	v_div_scale_f32 v3, s[0:1], v0, v0, v1
	v_rcp_f32_e32 v4, v3
	s_nop 0
	v_fma_f32 v5, -v3, v4, 1.0
	v_fmac_f32_e32 v4, v5, v4
	v_div_scale_f32 v5, vcc, v1, v0, v1
	v_mul_f32_e32 v6, v5, v4
	v_fma_f32 v7, -v3, v6, v5
	v_fmac_f32_e32 v6, v7, v4
	v_fma_f32 v3, -v3, v6, v5
	v_div_fmas_f32 v3, v3, v4, v6
	v_div_fixup_f32 v0, v3, v0, v1
.LBB18_1211:
	s_or_b64 exec, exec, s[16:17]
.LBB18_1212:
	s_or_b64 exec, exec, s[10:11]
	s_lshl_b32 s9, s9, 7
	v_add_u32_e32 v4, s9, v2
	v_ashrrev_i32_e32 v5, 31, v4
	s_cmp_lt_i32 s22, 11
	v_lshl_add_u64 v[2:3], s[6:7], 0, v[4:5]
	s_cbranch_scc1 .LBB18_1219
; %bb.1213:
	s_cmp_gt_i32 s22, 25
	s_mov_b64 s[10:11], 0
	s_cbranch_scc0 .LBB18_1221
; %bb.1214:
	s_cmp_gt_i32 s22, 28
	s_cbranch_scc0 .LBB18_1222
; %bb.1215:
	s_cmp_gt_i32 s22, 43
	;; [unrolled: 3-line block ×3, first 2 shown]
	s_cbranch_scc0 .LBB18_1225
; %bb.1217:
	s_cmp_eq_u32 s22, 46
	s_mov_b64 s[18:19], 0
	s_cbranch_scc0 .LBB18_1228
; %bb.1218:
	global_load_dword v1, v[2:3], off
	s_mov_b64 s[0:1], 0
	s_mov_b64 s[16:17], -1
	s_waitcnt vmcnt(0)
	v_lshlrev_b32_e32 v1, 16, v1
	s_branch .LBB18_1229
.LBB18_1219:
	s_mov_b64 s[16:17], 0
                                        ; implicit-def: $vgpr1
	s_cbranch_execnz .LBB18_1294
.LBB18_1220:
	s_andn2_b64 vcc, exec, s[16:17]
	s_cbranch_vccnz .LBB18_1714
	s_branch .LBB18_1341
.LBB18_1221:
	s_mov_b64 s[16:17], 0
	s_mov_b64 s[0:1], 0
                                        ; implicit-def: $vgpr1
	s_cbranch_execnz .LBB18_1258
	s_branch .LBB18_1290
.LBB18_1222:
	s_mov_b64 s[18:19], -1
	s_mov_b64 s[16:17], 0
	s_mov_b64 s[0:1], 0
                                        ; implicit-def: $vgpr1
	s_branch .LBB18_1239
.LBB18_1223:
	s_mov_b64 s[18:19], -1
	s_mov_b64 s[16:17], 0
	s_mov_b64 s[0:1], 0
                                        ; implicit-def: $vgpr1
	s_branch .LBB18_1234
.LBB18_1224:
	s_or_b64 s[14:15], s[12:13], exec
	s_trap 2
	s_cbranch_execz .LBB18_1153
	s_branch .LBB18_1154
.LBB18_1225:
	s_mov_b64 s[18:19], -1
	s_mov_b64 s[16:17], 0
	s_mov_b64 s[0:1], 0
                                        ; implicit-def: $vgpr1
	s_branch .LBB18_1229
.LBB18_1226:
	s_andn2_saveexec_b64 s[24:25], s[24:25]
	s_cbranch_execz .LBB18_1000
.LBB18_1227:
	s_mov_b32 s28, 0x42800000
	v_add_f32_e64 v1, |v0|, s28
	v_and_b32_e32 v1, 0xff, v1
	v_cmp_ne_u32_e32 vcc, 0, v1
	s_andn2_b64 s[22:23], s[22:23], exec
	s_and_b64 s[28:29], vcc, exec
	s_or_b64 s[22:23], s[22:23], s[28:29]
	s_or_b64 exec, exec, s[24:25]
	v_mov_b32_e32 v4, 0
	s_and_saveexec_b64 s[24:25], s[22:23]
	s_cbranch_execnz .LBB18_1001
	s_branch .LBB18_1002
.LBB18_1228:
	s_mov_b64 s[0:1], -1
                                        ; implicit-def: $vgpr1
	s_mov_b64 s[16:17], 0
.LBB18_1229:
	s_and_b64 vcc, exec, s[18:19]
	s_cbranch_vccz .LBB18_1233
; %bb.1230:
	s_cmp_eq_u32 s22, 44
	s_cbranch_scc0 .LBB18_1232
; %bb.1231:
	global_load_ubyte v1, v[2:3], off
	s_movk_i32 s16, 0xff
	v_mov_b32_e32 v5, 0x7f800001
	v_mov_b32_e32 v6, 0x400000
	s_mov_b64 s[0:1], 0
	s_waitcnt vmcnt(0)
	v_lshlrev_b32_e32 v7, 23, v1
	v_cmp_ne_u32_e32 vcc, s16, v1
	s_mov_b64 s[16:17], -1
	s_nop 0
	v_cndmask_b32_e32 v5, v5, v7, vcc
	v_cmp_ne_u32_e32 vcc, 0, v1
	s_nop 1
	v_cndmask_b32_e32 v1, v6, v5, vcc
	s_branch .LBB18_1233
.LBB18_1232:
	s_mov_b64 s[0:1], -1
                                        ; implicit-def: $vgpr1
.LBB18_1233:
	s_mov_b64 s[18:19], 0
.LBB18_1234:
	s_and_b64 vcc, exec, s[18:19]
	s_cbranch_vccz .LBB18_1238
; %bb.1235:
	s_cmp_eq_u32 s22, 29
	s_cbranch_scc0 .LBB18_1237
; %bb.1236:
	global_load_dwordx2 v[6:7], v[2:3], off
	s_mov_b64 s[0:1], 0
	s_mov_b64 s[16:17], -1
	s_mov_b64 s[18:19], 0
	s_waitcnt vmcnt(0)
	v_ffbh_u32_e32 v1, v7
	v_min_u32_e32 v1, 32, v1
	v_lshlrev_b64 v[6:7], v1, v[6:7]
	v_min_u32_e32 v5, 1, v6
	v_or_b32_e32 v5, v7, v5
	v_cvt_f32_u32_e32 v5, v5
	v_sub_u32_e32 v1, 32, v1
	v_ldexp_f32 v1, v5, v1
	s_branch .LBB18_1239
.LBB18_1237:
	s_mov_b64 s[0:1], -1
                                        ; implicit-def: $vgpr1
.LBB18_1238:
	s_mov_b64 s[18:19], 0
.LBB18_1239:
	s_and_b64 vcc, exec, s[18:19]
	s_cbranch_vccz .LBB18_1257
; %bb.1240:
	s_cmp_lt_i32 s22, 27
	s_cbranch_scc1 .LBB18_1243
; %bb.1241:
	s_cmp_gt_i32 s22, 27
	s_cbranch_scc0 .LBB18_1244
; %bb.1242:
	global_load_dword v1, v[2:3], off
	s_mov_b64 s[16:17], 0
	s_waitcnt vmcnt(0)
	v_cvt_f32_u32_e32 v1, v1
	s_branch .LBB18_1245
.LBB18_1243:
	s_mov_b64 s[16:17], -1
                                        ; implicit-def: $vgpr1
	s_branch .LBB18_1248
.LBB18_1244:
	s_mov_b64 s[16:17], -1
                                        ; implicit-def: $vgpr1
.LBB18_1245:
	s_andn2_b64 vcc, exec, s[16:17]
	s_cbranch_vccnz .LBB18_1247
; %bb.1246:
	global_load_ushort v1, v[2:3], off
	s_waitcnt vmcnt(0)
	v_cvt_f32_u32_e32 v1, v1
.LBB18_1247:
	s_mov_b64 s[16:17], 0
.LBB18_1248:
	s_andn2_b64 vcc, exec, s[16:17]
	s_cbranch_vccnz .LBB18_1256
; %bb.1249:
	global_load_ubyte v5, v[2:3], off
	s_movk_i32 s16, 0x7f
	s_waitcnt vmcnt(0)
	v_cmp_lt_i16_e32 vcc, s16, v5
	s_mov_b64 s[16:17], 0
	s_and_saveexec_b64 s[18:19], vcc
	s_xor_b64 s[18:19], exec, s[18:19]
	s_cbranch_execz .LBB18_1269
; %bb.1250:
	s_movk_i32 s16, 0x80
	v_cmp_eq_u16_e32 vcc, s16, v5
	s_mov_b64 s[16:17], -1
	s_and_saveexec_b64 s[20:21], vcc
; %bb.1251:
	s_xor_b64 s[16:17], exec, -1
; %bb.1252:
	s_or_b64 exec, exec, s[20:21]
	s_and_b64 s[16:17], s[16:17], exec
	s_or_saveexec_b64 s[18:19], s[18:19]
	v_mov_b32_e32 v1, 0x7f800001
	s_xor_b64 exec, exec, s[18:19]
	s_cbranch_execnz .LBB18_1270
.LBB18_1253:
	s_or_b64 exec, exec, s[18:19]
	s_and_saveexec_b64 s[18:19], s[16:17]
	s_cbranch_execz .LBB18_1255
.LBB18_1254:
	v_lshlrev_b32_e32 v1, 24, v5
	v_and_b32_e32 v5, 0xffff, v5
	v_and_b32_e32 v6, 7, v5
	v_ffbh_u32_e32 v9, v6
	v_min_u32_e32 v9, 32, v9
	v_subrev_u32_e32 v10, 28, v9
	v_bfe_u32 v7, v5, 3, 4
	v_lshlrev_b32_e32 v5, v10, v5
	v_sub_u32_e32 v9, 29, v9
	v_and_b32_e32 v5, 7, v5
	v_cmp_eq_u32_e32 vcc, 0, v7
	v_and_b32_e32 v1, 0x80000000, v1
	s_nop 0
	v_cndmask_b32_e32 v7, v7, v9, vcc
	v_cndmask_b32_e32 v5, v6, v5, vcc
	v_mov_b32_e32 v6, 0x3b800000
	v_lshlrev_b32_e32 v5, 20, v5
	v_lshl_add_u32 v6, v7, 23, v6
	v_or3_b32 v1, v1, v6, v5
.LBB18_1255:
	s_or_b64 exec, exec, s[18:19]
.LBB18_1256:
	s_mov_b64 s[16:17], -1
.LBB18_1257:
	s_branch .LBB18_1290
.LBB18_1258:
	s_cmp_gt_i32 s22, 22
	s_cbranch_scc0 .LBB18_1268
; %bb.1259:
	s_cmp_lt_i32 s22, 24
	s_cbranch_scc1 .LBB18_1271
; %bb.1260:
	s_cmp_gt_i32 s22, 24
	s_cbranch_scc0 .LBB18_1272
; %bb.1261:
	global_load_ubyte v5, v[2:3], off
	s_movk_i32 s10, 0x7f
	s_waitcnt vmcnt(0)
	v_cmp_lt_i16_e32 vcc, s10, v5
	s_mov_b64 s[10:11], 0
	s_and_saveexec_b64 s[16:17], vcc
	s_xor_b64 s[16:17], exec, s[16:17]
	s_cbranch_execz .LBB18_1284
; %bb.1262:
	s_movk_i32 s10, 0x80
	v_cmp_eq_u16_e32 vcc, s10, v5
	s_mov_b64 s[10:11], -1
	s_and_saveexec_b64 s[18:19], vcc
; %bb.1263:
	s_xor_b64 s[10:11], exec, -1
; %bb.1264:
	s_or_b64 exec, exec, s[18:19]
	s_and_b64 s[10:11], s[10:11], exec
	s_or_saveexec_b64 s[16:17], s[16:17]
	v_mov_b32_e32 v1, 0x7f800001
	s_xor_b64 exec, exec, s[16:17]
	s_cbranch_execnz .LBB18_1285
.LBB18_1265:
	s_or_b64 exec, exec, s[16:17]
	s_and_saveexec_b64 s[16:17], s[10:11]
	s_cbranch_execz .LBB18_1267
.LBB18_1266:
	v_lshlrev_b32_e32 v1, 24, v5
	v_and_b32_e32 v5, 0xffff, v5
	v_and_b32_e32 v6, 3, v5
	v_ffbh_u32_e32 v9, v6
	v_min_u32_e32 v9, 32, v9
	v_subrev_u32_e32 v10, 29, v9
	v_bfe_u32 v7, v5, 2, 5
	v_lshlrev_b32_e32 v5, v10, v5
	v_sub_u32_e32 v9, 30, v9
	v_and_b32_e32 v5, 3, v5
	v_cmp_eq_u32_e32 vcc, 0, v7
	v_and_b32_e32 v1, 0x80000000, v1
	s_nop 0
	v_cndmask_b32_e32 v7, v7, v9, vcc
	v_cndmask_b32_e32 v5, v6, v5, vcc
	v_mov_b32_e32 v6, 0x37800000
	v_lshlrev_b32_e32 v5, 21, v5
	v_lshl_add_u32 v6, v7, 23, v6
	v_or3_b32 v1, v1, v6, v5
.LBB18_1267:
	s_or_b64 exec, exec, s[16:17]
	s_mov_b64 s[10:11], 0
	s_branch .LBB18_1273
.LBB18_1268:
	s_mov_b64 s[10:11], -1
                                        ; implicit-def: $vgpr1
	s_branch .LBB18_1279
.LBB18_1269:
	s_or_saveexec_b64 s[18:19], s[18:19]
	v_mov_b32_e32 v1, 0x7f800001
	s_xor_b64 exec, exec, s[18:19]
	s_cbranch_execz .LBB18_1253
.LBB18_1270:
	v_cmp_ne_u16_e32 vcc, 0, v5
	s_andn2_b64 s[16:17], s[16:17], exec
	s_and_b64 s[20:21], vcc, exec
	v_mov_b32_e32 v1, 0
	s_or_b64 s[16:17], s[16:17], s[20:21]
	s_or_b64 exec, exec, s[18:19]
	s_and_saveexec_b64 s[18:19], s[16:17]
	s_cbranch_execnz .LBB18_1254
	s_branch .LBB18_1255
.LBB18_1271:
	s_mov_b64 s[10:11], -1
                                        ; implicit-def: $vgpr1
	s_branch .LBB18_1276
.LBB18_1272:
	s_mov_b64 s[10:11], -1
                                        ; implicit-def: $vgpr1
.LBB18_1273:
	s_and_b64 vcc, exec, s[10:11]
	s_cbranch_vccz .LBB18_1275
; %bb.1274:
	global_load_ubyte v1, v[2:3], off
	s_mov_b32 s10, 0x7f800000
	s_waitcnt vmcnt(0)
	v_lshlrev_b32_e32 v1, 24, v1
	v_and_b32_e32 v5, 0x7f000000, v1
	v_ffbh_u32_e32 v6, v5
	v_min_u32_e32 v6, 32, v6
	v_sub_u32_e64 v6, v6, 4 clamp
	v_lshlrev_b32_e32 v9, v6, v5
	v_lshlrev_b32_e32 v6, 23, v6
	v_lshrrev_b32_e32 v9, 4, v9
	v_add_u32_e32 v7, 0x1000000, v5
	v_sub_u32_e32 v6, v9, v6
	v_ashrrev_i32_e32 v7, 8, v7
	v_add_u32_e32 v6, 0x3c000000, v6
	v_and_or_b32 v6, v7, s10, v6
	v_cmp_ne_u32_e32 vcc, 0, v5
	s_brev_b32 s10, 1
	s_nop 0
	v_cndmask_b32_e32 v5, 0, v6, vcc
	v_and_or_b32 v1, v1, s10, v5
.LBB18_1275:
	s_mov_b64 s[10:11], 0
.LBB18_1276:
	s_andn2_b64 vcc, exec, s[10:11]
	s_cbranch_vccnz .LBB18_1278
; %bb.1277:
	global_load_ubyte v1, v[2:3], off
	s_movk_i32 s10, 0x7f00
	s_brev_b32 s11, 16
	s_waitcnt vmcnt(0)
	v_lshlrev_b16_e32 v5, 8, v1
	v_lshlrev_b32_e32 v1, 25, v1
	v_lshrrev_b32_e32 v6, 4, v1
	v_and_or_b32 v7, v5, s10, 0.5
	v_or_b32_e32 v6, 0x70000000, v6
	v_add_f32_e32 v7, -0.5, v7
	v_mul_f32_e32 v6, 0x7800000, v6
	v_cmp_gt_u32_e32 vcc, s11, v1
	v_bfe_i32 v5, v5, 0, 16
	s_brev_b32 s10, 1
	v_cndmask_b32_e32 v1, v6, v7, vcc
	v_and_or_b32 v1, v5, s10, v1
.LBB18_1278:
	s_mov_b64 s[10:11], 0
	s_mov_b64 s[16:17], -1
.LBB18_1279:
	s_andn2_b64 vcc, exec, s[10:11]
	s_mov_b64 s[10:11], 0
	s_cbranch_vccnz .LBB18_1290
; %bb.1280:
	s_cmp_gt_i32 s22, 14
	s_cbranch_scc0 .LBB18_1283
; %bb.1281:
	s_cmp_eq_u32 s22, 15
	s_cbranch_scc0 .LBB18_1286
; %bb.1282:
	global_load_ushort v1, v[2:3], off
	s_mov_b64 s[0:1], 0
	s_mov_b64 s[16:17], -1
	s_waitcnt vmcnt(0)
	v_lshlrev_b32_e32 v1, 16, v1
	s_branch .LBB18_1287
.LBB18_1283:
	s_mov_b64 s[18:19], -1
                                        ; implicit-def: $vgpr1
	s_branch .LBB18_1288
.LBB18_1284:
	s_or_saveexec_b64 s[16:17], s[16:17]
	v_mov_b32_e32 v1, 0x7f800001
	s_xor_b64 exec, exec, s[16:17]
	s_cbranch_execz .LBB18_1265
.LBB18_1285:
	v_cmp_ne_u16_e32 vcc, 0, v5
	s_andn2_b64 s[10:11], s[10:11], exec
	s_and_b64 s[18:19], vcc, exec
	v_mov_b32_e32 v1, 0
	s_or_b64 s[10:11], s[10:11], s[18:19]
	s_or_b64 exec, exec, s[16:17]
	s_and_saveexec_b64 s[16:17], s[10:11]
	s_cbranch_execnz .LBB18_1266
	s_branch .LBB18_1267
.LBB18_1286:
	s_mov_b64 s[0:1], -1
                                        ; implicit-def: $vgpr1
.LBB18_1287:
	s_mov_b64 s[18:19], 0
.LBB18_1288:
	s_and_b64 vcc, exec, s[18:19]
	s_cbranch_vccz .LBB18_1290
; %bb.1289:
	s_cmp_lg_u32 s22, 11
	s_mov_b64 s[10:11], -1
	s_cselect_b64 s[0:1], -1, 0
.LBB18_1290:
	s_and_b64 vcc, exec, s[0:1]
	s_cbranch_vccnz .LBB18_1365
; %bb.1291:
	s_andn2_b64 vcc, exec, s[10:11]
	s_cbranch_vccnz .LBB18_1293
.LBB18_1292:
	global_load_ubyte v1, v[2:3], off
	s_mov_b64 s[16:17], -1
	s_waitcnt vmcnt(0)
	v_cmp_ne_u16_e32 vcc, 0, v1
	s_nop 1
	v_cndmask_b32_e64 v1, 0, 1.0, vcc
.LBB18_1293:
	s_branch .LBB18_1220
.LBB18_1294:
	s_cmp_lt_i32 s22, 5
	s_cbranch_scc1 .LBB18_1299
; %bb.1295:
	s_cmp_lt_i32 s22, 8
	s_cbranch_scc1 .LBB18_1300
; %bb.1296:
	;; [unrolled: 3-line block ×3, first 2 shown]
	s_cmp_gt_i32 s22, 9
	s_cbranch_scc0 .LBB18_1302
; %bb.1298:
	global_load_dwordx2 v[6:7], v[2:3], off
	s_mov_b64 s[0:1], 0
	s_waitcnt vmcnt(0)
	v_cvt_f32_f64_e32 v1, v[6:7]
	s_branch .LBB18_1303
.LBB18_1299:
                                        ; implicit-def: $vgpr1
	s_branch .LBB18_1321
.LBB18_1300:
	s_mov_b64 s[0:1], -1
                                        ; implicit-def: $vgpr1
	s_branch .LBB18_1309
.LBB18_1301:
	s_mov_b64 s[0:1], -1
                                        ; implicit-def: $vgpr1
	s_branch .LBB18_1306
.LBB18_1302:
	s_mov_b64 s[0:1], -1
                                        ; implicit-def: $vgpr1
.LBB18_1303:
	s_andn2_b64 vcc, exec, s[0:1]
	s_cbranch_vccnz .LBB18_1305
; %bb.1304:
	global_load_dword v1, v[2:3], off
.LBB18_1305:
	s_mov_b64 s[0:1], 0
.LBB18_1306:
	s_andn2_b64 vcc, exec, s[0:1]
	s_cbranch_vccnz .LBB18_1308
; %bb.1307:
	global_load_dword v1, v[2:3], off
	s_waitcnt vmcnt(0)
	v_cvt_f32_f16_e32 v1, v1
.LBB18_1308:
	s_mov_b64 s[0:1], 0
.LBB18_1309:
	s_andn2_b64 vcc, exec, s[0:1]
	s_cbranch_vccnz .LBB18_1320
; %bb.1310:
	s_cmp_lt_i32 s22, 6
	s_cbranch_scc1 .LBB18_1313
; %bb.1311:
	s_cmp_gt_i32 s22, 6
	s_cbranch_scc0 .LBB18_1314
; %bb.1312:
	global_load_dwordx2 v[6:7], v[2:3], off
	s_mov_b64 s[0:1], 0
	s_waitcnt vmcnt(0)
	v_cvt_f32_f64_e32 v1, v[6:7]
	s_branch .LBB18_1315
.LBB18_1313:
	s_mov_b64 s[0:1], -1
                                        ; implicit-def: $vgpr1
	s_branch .LBB18_1318
.LBB18_1314:
	s_mov_b64 s[0:1], -1
                                        ; implicit-def: $vgpr1
.LBB18_1315:
	s_andn2_b64 vcc, exec, s[0:1]
	s_cbranch_vccnz .LBB18_1317
; %bb.1316:
	global_load_dword v1, v[2:3], off
.LBB18_1317:
	s_mov_b64 s[0:1], 0
.LBB18_1318:
	s_andn2_b64 vcc, exec, s[0:1]
	s_cbranch_vccnz .LBB18_1320
; %bb.1319:
	global_load_ushort v1, v[2:3], off
	s_waitcnt vmcnt(0)
	v_cvt_f32_f16_e32 v1, v1
.LBB18_1320:
	s_cbranch_execnz .LBB18_1340
.LBB18_1321:
	s_cmp_lt_i32 s22, 2
	s_cbranch_scc1 .LBB18_1325
; %bb.1322:
	s_cmp_lt_i32 s22, 3
	s_cbranch_scc1 .LBB18_1326
; %bb.1323:
	s_cmp_gt_i32 s22, 3
	s_cbranch_scc0 .LBB18_1327
; %bb.1324:
	global_load_dwordx2 v[6:7], v[2:3], off
	s_mov_b64 s[0:1], 0
	s_waitcnt vmcnt(0)
	v_xor_b32_e32 v5, v6, v7
	v_ffbh_i32_e32 v1, v7
	v_ashrrev_i32_e32 v5, 31, v5
	v_add_u32_e32 v1, -1, v1
	v_add_u32_e32 v5, 32, v5
	v_min_u32_e32 v1, v1, v5
	v_lshlrev_b64 v[6:7], v1, v[6:7]
	v_min_u32_e32 v5, 1, v6
	v_or_b32_e32 v5, v7, v5
	v_cvt_f32_i32_e32 v5, v5
	v_sub_u32_e32 v1, 32, v1
	v_ldexp_f32 v1, v5, v1
	s_branch .LBB18_1328
.LBB18_1325:
	s_mov_b64 s[0:1], -1
                                        ; implicit-def: $vgpr1
	s_branch .LBB18_1334
.LBB18_1326:
	s_mov_b64 s[0:1], -1
                                        ; implicit-def: $vgpr1
	s_branch .LBB18_1331
.LBB18_1327:
	s_mov_b64 s[0:1], -1
                                        ; implicit-def: $vgpr1
.LBB18_1328:
	s_andn2_b64 vcc, exec, s[0:1]
	s_cbranch_vccnz .LBB18_1330
; %bb.1329:
	global_load_dword v1, v[2:3], off
	s_waitcnt vmcnt(0)
	v_cvt_f32_i32_e32 v1, v1
.LBB18_1330:
	s_mov_b64 s[0:1], 0
.LBB18_1331:
	s_andn2_b64 vcc, exec, s[0:1]
	s_cbranch_vccnz .LBB18_1333
; %bb.1332:
	global_load_sshort v1, v[2:3], off
	s_waitcnt vmcnt(0)
	v_cvt_f32_i32_e32 v1, v1
.LBB18_1333:
	s_mov_b64 s[0:1], 0
.LBB18_1334:
	s_andn2_b64 vcc, exec, s[0:1]
	s_cbranch_vccnz .LBB18_1340
; %bb.1335:
	s_cmp_gt_i32 s22, 0
	s_cbranch_scc0 .LBB18_1337
; %bb.1336:
	global_load_sbyte v1, v[2:3], off
	s_mov_b64 s[0:1], 0
	s_waitcnt vmcnt(0)
	v_cvt_f32_i32_e32 v1, v1
	s_branch .LBB18_1338
.LBB18_1337:
	s_mov_b64 s[0:1], -1
                                        ; implicit-def: $vgpr1
.LBB18_1338:
	s_andn2_b64 vcc, exec, s[0:1]
	s_cbranch_vccnz .LBB18_1340
; %bb.1339:
	global_load_ubyte v1, v[2:3], off
	s_waitcnt vmcnt(0)
	v_cvt_f32_ubyte0_e32 v1, v1
.LBB18_1340:
.LBB18_1341:
	s_mov_b32 s0, 0x41000000
	s_waitcnt vmcnt(0)
	v_cmp_le_f32_e64 s[0:1], |v1|, s0
                                        ; implicit-def: $vgpr2
	s_and_saveexec_b64 s[10:11], s[0:1]
	s_xor_b64 s[10:11], exec, s[10:11]
	s_cbranch_execz .LBB18_1347
; %bb.1342:
	v_fma_f32 v2, |v1|, 0.5, -2.0
	v_mov_b32_e32 v3, 0xa3c2be86
	v_fmac_f32_e32 v3, 0x224cf950, v2
	v_fmaak_f32 v5, v2, v3, 0xa24cf950
	v_add_f32_e32 v5, 0x25331f1f, v5
	v_fma_f32 v3, v2, v5, -v3
	v_add_f32_e32 v3, 0xa69f5554, v3
	v_fma_f32 v5, v2, v3, -v5
	v_add_f32_e32 v5, 0x2808ebf8, v5
	v_fma_f32 v3, v2, v5, -v3
	v_add_f32_e32 v3, 0xa9631471, v3
	v_fma_f32 v5, v2, v3, -v5
	v_add_f32_e32 v5, 0x2ab57bc2, v5
	v_fma_f32 v3, v2, v5, -v3
	v_add_f32_e32 v3, 0xac0b9c1b, v3
	v_fma_f32 v5, v2, v3, -v5
	v_add_f32_e32 v5, 0x2d4e7716, v5
	v_fma_f32 v3, v2, v5, -v3
	v_add_f32_e32 v3, 0xae92881d, v3
	v_fma_f32 v5, v2, v3, -v5
	v_add_f32_e32 v5, 0x2fc751a6, v5
	v_fma_f32 v3, v2, v5, -v3
	v_add_f32_e32 v3, 0xb101b0d9, v3
	v_fma_f32 v5, v2, v3, -v5
	v_add_f32_e32 v5, 0x32212c70, v5
	v_fma_f32 v3, v2, v5, -v3
	v_add_f32_e32 v3, 0xb33ee9f1, v3
	v_fma_f32 v5, v2, v3, -v5
	v_add_f32_e32 v5, 0x34571a26, v5
	v_fma_f32 v3, v2, v5, -v3
	v_add_f32_e32 v3, 0xb56603cc, v3
	v_fma_f32 v5, v2, v3, -v5
	v_add_f32_e32 v5, 0x3668e277, v5
	v_fma_f32 v3, v2, v5, -v3
	v_add_f32_e32 v3, 0xb75eafce, v3
	v_fma_f32 v5, v2, v3, -v5
	v_add_f32_e32 v5, 0x38488daa, v5
	v_fma_f32 v3, v2, v5, -v3
	v_add_f32_e32 v3, 0xb9299e57, v3
	v_fma_f32 v5, v2, v3, -v5
	v_add_f32_e32 v5, 0x3a064aee, v5
	v_fma_f32 v3, v2, v5, -v3
	v_add_f32_e32 v3, 0xbac66310, v3
	v_fma_f32 v5, v2, v3, -v5
	v_add_f32_e32 v5, 0x3b88329a, v5
	v_fma_f32 v3, v2, v5, -v3
	v_add_f32_e32 v3, 0xbc2d14fc, v3
	v_fma_f32 v5, v2, v3, -v5
	v_add_f32_e32 v5, 0x3cca8f1f, v5
	v_fma_f32 v3, v2, v5, -v3
	v_add_f32_e32 v3, 0xbd58dde3, v3
	v_fma_f32 v5, v2, v3, -v5
	v_add_f32_e32 v5, 0x3dd236d7, v5
	v_fma_f32 v3, v2, v5, -v3
	v_add_f32_e32 v3, 0xbe34a688, v3
	s_mov_b32 s0, 0x3fb8aa3b
	v_fma_f32 v2, v2, v3, -v5
	v_mul_f32_e64 v3, |v1|, s0
	v_rndne_f32_e32 v6, v3
	v_sub_f32_e32 v7, v3, v6
	v_fma_f32 v3, |v1|, s0, -v3
	s_mov_b32 s0, 0x32a5705f
	v_fma_f32 v3, |v1|, s0, v3
	v_add_f32_e32 v3, v7, v3
	v_exp_f32_e32 v7, v3
	v_cvt_i32_f32_e32 v6, v6
	v_add_f32_e32 v2, 0x3e81531c, v2
	v_sub_f32_e32 v2, v2, v5
	v_mul_f32_e32 v2, 0.5, v2
	s_mov_b32 s0, 0xc2ce8ed0
	v_mul_f32_e64 v3, |v1|, v2
	v_ldexp_f32 v2, v7, v6
	v_cmp_nlt_f32_e64 s[0:1], |v1|, s0
	v_mov_b32_e32 v5, 0x7f800000
	v_cmp_ngt_f32_e32 vcc, 0, v1
	v_cndmask_b32_e64 v2, 0, v2, s[0:1]
	s_mov_b32 s0, 0x42b17218
	v_cmp_ngt_f32_e64 s[0:1], |v1|, s0
	s_nop 1
	v_cndmask_b32_e64 v1, v5, v2, s[0:1]
                                        ; implicit-def: $vgpr2
	s_and_saveexec_b64 s[0:1], vcc
	s_xor_b64 s[0:1], exec, s[0:1]
; %bb.1343:
	v_mul_f32_e32 v2, v1, v3
                                        ; implicit-def: $vgpr1
                                        ; implicit-def: $vgpr3
; %bb.1344:
	s_andn2_saveexec_b64 s[0:1], s[0:1]
; %bb.1345:
	v_mul_f32_e64 v2, v3, -v1
; %bb.1346:
	s_or_b64 exec, exec, s[0:1]
                                        ; implicit-def: $vgpr1
.LBB18_1347:
	s_andn2_saveexec_b64 s[10:11], s[10:11]
	s_cbranch_execz .LBB18_1353
; %bb.1348:
	v_and_b32_e32 v2, 0x7fffffff, v1
	s_mov_b32 s16, 0x42000000
	v_div_scale_f32 v3, s[0:1], v2, v2, s16
	v_rcp_f32_e32 v5, v3
	v_div_scale_f32 v2, vcc, s16, v2, s16
	s_mov_b32 s0, 0x3fb8aa3b
	v_fma_f32 v6, -v3, v5, 1.0
	v_fmac_f32_e32 v5, v6, v5
	v_mul_f32_e32 v6, v2, v5
	v_fma_f32 v7, -v3, v6, v2
	v_fmac_f32_e32 v6, v7, v5
	v_fma_f32 v2, -v3, v6, v2
	v_div_fmas_f32 v2, v2, v5, v6
	v_div_fixup_f32 v2, v2, |v1|, s16
	v_add_f32_e32 v2, -2.0, v2
	v_mov_b32_e32 v3, 0x22a2dc57
	v_fmac_f32_e32 v3, 0x230aab6e, v2
	v_fmaak_f32 v5, v2, v3, 0xa30aab6e
	v_add_f32_e32 v5, 0xa456751e, v5
	v_fma_f32 v3, v2, v5, -v3
	v_add_f32_e32 v3, 0xa4140365, v3
	v_fma_f32 v5, v2, v3, -v5
	;; [unrolled: 2-line block ×17, first 2 shown]
	v_add_f32_e32 v3, 0xb2e20a9d, v3
	v_mul_f32_e64 v6, |v1|, s0
	v_fma_f32 v5, v2, v3, -v5
	v_rndne_f32_e32 v7, v6
	v_add_f32_e32 v5, 0xb486dfe9, v5
	v_sub_f32_e32 v9, v6, v7
	v_fma_f32 v6, |v1|, s0, -v6
	s_mov_b32 s0, 0x32a5705f
	v_fma_f32 v3, v2, v5, -v3
	v_fma_f32 v6, |v1|, s0, v6
	v_add_f32_e32 v3, 0xb68246fa, v3
	v_add_f32_e32 v6, v9, v6
	v_fma_f32 v5, v2, v3, -v5
	v_exp_f32_e32 v6, v6
	v_cvt_i32_f32_e32 v7, v7
	v_add_f32_e32 v5, 0xb8e7ebfc, v5
	v_fma_f32 v3, v2, v5, -v3
	v_add_f32_e32 v3, 0xbc1fed03, v3
	s_mov_b32 s0, 0xc2ce8ed0
	v_fma_f32 v2, v2, v3, -v5
	v_ldexp_f32 v3, v6, v7
	v_cmp_nlt_f32_e64 s[0:1], |v1|, s0
	v_add_f32_e32 v2, 0x3f4750c6, v2
	v_mov_b32_e32 v6, 0x7f800000
	v_cndmask_b32_e64 v3, 0, v3, s[0:1]
	s_mov_b32 s0, 0x42b17218
	v_cmp_ngt_f32_e64 s[0:1], |v1|, s0
	v_cmp_ngt_f32_e32 vcc, 0, v1
	v_sub_f32_e32 v5, v2, v5
	v_cndmask_b32_e64 v3, v6, v3, s[0:1]
                                        ; implicit-def: $vgpr2
	s_and_saveexec_b64 s[0:1], vcc
	s_xor_b64 s[16:17], exec, s[0:1]
	s_cbranch_execz .LBB18_1350
; %bb.1349:
	s_mov_b32 s0, 0xf800000
	s_mov_b32 s1, 0x4f800000
	v_mul_f32_e64 v2, |v1|, s1
	v_cmp_lt_f32_e64 vcc, |v1|, s0
	v_mul_f32_e32 v5, 0.5, v5
	v_mul_f32_e32 v3, v3, v5
	v_cndmask_b32_e64 v1, |v1|, v2, vcc
	v_sqrt_f32_e32 v2, v1
	s_nop 0
	v_add_u32_e32 v5, -1, v2
	v_fma_f32 v6, -v5, v2, v1
	v_cmp_ge_f32_e64 s[0:1], 0, v6
	v_add_u32_e32 v6, 1, v2
	s_nop 0
	v_cndmask_b32_e64 v5, v2, v5, s[0:1]
	v_fma_f32 v2, -v6, v2, v1
	v_cmp_lt_f32_e64 s[0:1], 0, v2
	s_nop 1
	v_cndmask_b32_e64 v2, v5, v6, s[0:1]
	v_mul_f32_e32 v5, 0x37800000, v2
	v_cndmask_b32_e32 v2, v2, v5, vcc
	v_mov_b32_e32 v5, 0x260
	v_cmp_class_f32_e32 vcc, v1, v5
	s_nop 1
	v_cndmask_b32_e32 v1, v2, v1, vcc
	v_div_scale_f32 v2, s[0:1], v1, v1, v3
	v_rcp_f32_e32 v5, v2
	s_nop 0
	v_fma_f32 v6, -v2, v5, 1.0
	v_fmac_f32_e32 v5, v6, v5
	v_div_scale_f32 v6, vcc, v3, v1, v3
	v_mul_f32_e32 v7, v6, v5
	v_fma_f32 v9, -v2, v7, v6
	v_fmac_f32_e32 v7, v9, v5
	v_fma_f32 v2, -v2, v7, v6
	v_div_fmas_f32 v2, v2, v5, v7
	v_div_fixup_f32 v2, v2, v1, v3
                                        ; implicit-def: $vgpr1
                                        ; implicit-def: $vgpr5
                                        ; implicit-def: $vgpr3
.LBB18_1350:
	s_andn2_saveexec_b64 s[16:17], s[16:17]
	s_cbranch_execz .LBB18_1352
; %bb.1351:
	s_mov_b32 s0, 0xf800000
	s_mov_b32 s1, 0x4f800000
	v_mul_f32_e64 v2, |v1|, s1
	v_cmp_lt_f32_e64 vcc, |v1|, s0
	s_nop 1
	v_cndmask_b32_e64 v1, |v1|, v2, vcc
	v_sqrt_f32_e32 v2, v1
	s_nop 0
	v_add_u32_e32 v6, -1, v2
	v_fma_f32 v7, -v6, v2, v1
	v_cmp_ge_f32_e64 s[0:1], 0, v7
	v_add_u32_e32 v7, 1, v2
	s_nop 0
	v_cndmask_b32_e64 v6, v2, v6, s[0:1]
	v_fma_f32 v2, -v7, v2, v1
	v_cmp_lt_f32_e64 s[0:1], 0, v2
	s_nop 1
	v_cndmask_b32_e64 v2, v6, v7, s[0:1]
	v_mul_f32_e32 v6, 0x37800000, v2
	v_cndmask_b32_e32 v2, v2, v6, vcc
	v_mov_b32_e32 v6, 0x260
	v_cmp_class_f32_e32 vcc, v1, v6
	s_nop 1
	v_cndmask_b32_e32 v1, v2, v1, vcc
	v_mul_f32_e32 v2, -0.5, v5
	v_mul_f32_e32 v2, v3, v2
	v_div_scale_f32 v3, s[0:1], v1, v1, v2
	v_rcp_f32_e32 v5, v3
	s_nop 0
	v_fma_f32 v6, -v3, v5, 1.0
	v_fmac_f32_e32 v5, v6, v5
	v_div_scale_f32 v6, vcc, v2, v1, v2
	v_mul_f32_e32 v7, v6, v5
	v_fma_f32 v9, -v3, v7, v6
	v_fmac_f32_e32 v7, v9, v5
	v_fma_f32 v3, -v3, v7, v6
	v_div_fmas_f32 v3, v3, v5, v7
	v_div_fixup_f32 v2, v3, v1, v2
.LBB18_1352:
	s_or_b64 exec, exec, s[16:17]
.LBB18_1353:
	s_or_b64 exec, exec, s[10:11]
	v_add_u32_e32 v6, s9, v4
	v_ashrrev_i32_e32 v7, 31, v6
	s_cmp_lt_i32 s22, 11
	v_lshl_add_u64 v[4:5], s[6:7], 0, v[6:7]
	s_cbranch_scc1 .LBB18_1360
; %bb.1354:
	s_cmp_gt_i32 s22, 25
	s_mov_b64 s[10:11], 0
	s_cbranch_scc0 .LBB18_1362
; %bb.1355:
	s_cmp_gt_i32 s22, 28
	s_cbranch_scc0 .LBB18_1363
; %bb.1356:
	s_cmp_gt_i32 s22, 43
	;; [unrolled: 3-line block ×3, first 2 shown]
	s_cbranch_scc0 .LBB18_1366
; %bb.1358:
	s_cmp_eq_u32 s22, 46
	s_mov_b64 s[18:19], 0
	s_cbranch_scc0 .LBB18_1367
; %bb.1359:
	global_load_dword v1, v[4:5], off
	s_mov_b64 s[0:1], 0
	s_mov_b64 s[16:17], -1
	s_waitcnt vmcnt(0)
	v_lshlrev_b32_e32 v1, 16, v1
	s_branch .LBB18_1368
.LBB18_1360:
	s_mov_b64 s[16:17], 0
                                        ; implicit-def: $vgpr1
	s_cbranch_execnz .LBB18_1434
.LBB18_1361:
	s_andn2_b64 vcc, exec, s[16:17]
	s_cbranch_vccnz .LBB18_1714
	s_branch .LBB18_1482
.LBB18_1362:
	s_mov_b64 s[18:19], -1
	s_mov_b64 s[16:17], 0
	s_mov_b64 s[0:1], 0
                                        ; implicit-def: $vgpr1
	s_branch .LBB18_1397
.LBB18_1363:
	s_mov_b64 s[18:19], -1
	s_mov_b64 s[16:17], 0
	s_mov_b64 s[0:1], 0
                                        ; implicit-def: $vgpr1
	s_branch .LBB18_1378
.LBB18_1364:
	s_mov_b64 s[18:19], -1
	s_mov_b64 s[16:17], 0
	s_mov_b64 s[0:1], 0
                                        ; implicit-def: $vgpr1
	s_branch .LBB18_1373
.LBB18_1365:
	s_trap 2
	s_or_b64 s[14:15], s[14:15], exec
	s_cbranch_execz .LBB18_1292
	s_branch .LBB18_1293
.LBB18_1366:
	s_mov_b64 s[18:19], -1
	s_mov_b64 s[16:17], 0
	s_mov_b64 s[0:1], 0
                                        ; implicit-def: $vgpr1
	s_branch .LBB18_1368
.LBB18_1367:
	s_mov_b64 s[0:1], -1
                                        ; implicit-def: $vgpr1
	s_mov_b64 s[16:17], 0
.LBB18_1368:
	s_and_b64 vcc, exec, s[18:19]
	s_cbranch_vccz .LBB18_1372
; %bb.1369:
	s_cmp_eq_u32 s22, 44
	s_cbranch_scc0 .LBB18_1371
; %bb.1370:
	global_load_ubyte v1, v[4:5], off
	s_movk_i32 s16, 0xff
	v_mov_b32_e32 v3, 0x7f800001
	v_mov_b32_e32 v7, 0x400000
	s_mov_b64 s[0:1], 0
	s_waitcnt vmcnt(0)
	v_lshlrev_b32_e32 v9, 23, v1
	v_cmp_ne_u32_e32 vcc, s16, v1
	s_mov_b64 s[16:17], -1
	s_nop 0
	v_cndmask_b32_e32 v3, v3, v9, vcc
	v_cmp_ne_u32_e32 vcc, 0, v1
	s_nop 1
	v_cndmask_b32_e32 v1, v7, v3, vcc
	s_branch .LBB18_1372
.LBB18_1371:
	s_mov_b64 s[0:1], -1
                                        ; implicit-def: $vgpr1
.LBB18_1372:
	s_mov_b64 s[18:19], 0
.LBB18_1373:
	s_and_b64 vcc, exec, s[18:19]
	s_cbranch_vccz .LBB18_1377
; %bb.1374:
	s_cmp_eq_u32 s22, 29
	s_cbranch_scc0 .LBB18_1376
; %bb.1375:
	global_load_dwordx2 v[10:11], v[4:5], off
	s_mov_b64 s[0:1], 0
	s_mov_b64 s[16:17], -1
	s_mov_b64 s[18:19], 0
	s_waitcnt vmcnt(0)
	v_ffbh_u32_e32 v1, v11
	v_min_u32_e32 v1, 32, v1
	v_lshlrev_b64 v[10:11], v1, v[10:11]
	v_min_u32_e32 v3, 1, v10
	v_or_b32_e32 v3, v11, v3
	v_cvt_f32_u32_e32 v3, v3
	v_sub_u32_e32 v1, 32, v1
	v_ldexp_f32 v1, v3, v1
	s_branch .LBB18_1378
.LBB18_1376:
	s_mov_b64 s[0:1], -1
                                        ; implicit-def: $vgpr1
.LBB18_1377:
	s_mov_b64 s[18:19], 0
.LBB18_1378:
	s_and_b64 vcc, exec, s[18:19]
	s_cbranch_vccz .LBB18_1396
; %bb.1379:
	s_cmp_lt_i32 s22, 27
	s_cbranch_scc1 .LBB18_1382
; %bb.1380:
	s_cmp_gt_i32 s22, 27
	s_cbranch_scc0 .LBB18_1383
; %bb.1381:
	global_load_dword v1, v[4:5], off
	s_mov_b64 s[16:17], 0
	s_waitcnt vmcnt(0)
	v_cvt_f32_u32_e32 v1, v1
	s_branch .LBB18_1384
.LBB18_1382:
	s_mov_b64 s[16:17], -1
                                        ; implicit-def: $vgpr1
	s_branch .LBB18_1387
.LBB18_1383:
	s_mov_b64 s[16:17], -1
                                        ; implicit-def: $vgpr1
.LBB18_1384:
	s_andn2_b64 vcc, exec, s[16:17]
	s_cbranch_vccnz .LBB18_1386
; %bb.1385:
	global_load_ushort v1, v[4:5], off
	s_waitcnt vmcnt(0)
	v_cvt_f32_u32_e32 v1, v1
.LBB18_1386:
	s_mov_b64 s[16:17], 0
.LBB18_1387:
	s_andn2_b64 vcc, exec, s[16:17]
	s_cbranch_vccnz .LBB18_1395
; %bb.1388:
	global_load_ubyte v3, v[4:5], off
	s_movk_i32 s16, 0x7f
	s_waitcnt vmcnt(0)
	v_cmp_lt_i16_e32 vcc, s16, v3
	s_mov_b64 s[16:17], 0
	s_and_saveexec_b64 s[18:19], vcc
	s_xor_b64 s[18:19], exec, s[18:19]
	s_cbranch_execz .LBB18_1409
; %bb.1389:
	s_movk_i32 s16, 0x80
	v_cmp_eq_u16_e32 vcc, s16, v3
	s_mov_b64 s[16:17], -1
	s_and_saveexec_b64 s[20:21], vcc
; %bb.1390:
	s_xor_b64 s[16:17], exec, -1
; %bb.1391:
	s_or_b64 exec, exec, s[20:21]
	s_and_b64 s[16:17], s[16:17], exec
	s_or_saveexec_b64 s[18:19], s[18:19]
	v_mov_b32_e32 v1, 0x7f800001
	s_xor_b64 exec, exec, s[18:19]
	s_cbranch_execnz .LBB18_1410
.LBB18_1392:
	s_or_b64 exec, exec, s[18:19]
	s_and_saveexec_b64 s[18:19], s[16:17]
	s_cbranch_execz .LBB18_1394
.LBB18_1393:
	v_lshlrev_b32_e32 v1, 24, v3
	v_and_b32_e32 v3, 0xffff, v3
	v_and_b32_e32 v7, 7, v3
	v_ffbh_u32_e32 v10, v7
	v_min_u32_e32 v10, 32, v10
	v_subrev_u32_e32 v11, 28, v10
	v_bfe_u32 v9, v3, 3, 4
	v_lshlrev_b32_e32 v3, v11, v3
	v_sub_u32_e32 v10, 29, v10
	v_and_b32_e32 v3, 7, v3
	v_cmp_eq_u32_e32 vcc, 0, v9
	v_and_b32_e32 v1, 0x80000000, v1
	s_nop 0
	v_cndmask_b32_e32 v9, v9, v10, vcc
	v_cndmask_b32_e32 v3, v7, v3, vcc
	v_mov_b32_e32 v7, 0x3b800000
	v_lshlrev_b32_e32 v3, 20, v3
	v_lshl_add_u32 v7, v9, 23, v7
	v_or3_b32 v1, v1, v7, v3
.LBB18_1394:
	s_or_b64 exec, exec, s[18:19]
.LBB18_1395:
	s_mov_b64 s[16:17], -1
.LBB18_1396:
	s_mov_b64 s[18:19], 0
.LBB18_1397:
	s_and_b64 vcc, exec, s[18:19]
	s_cbranch_vccz .LBB18_1430
; %bb.1398:
	s_cmp_gt_i32 s22, 22
	s_cbranch_scc0 .LBB18_1408
; %bb.1399:
	s_cmp_lt_i32 s22, 24
	s_cbranch_scc1 .LBB18_1411
; %bb.1400:
	s_cmp_gt_i32 s22, 24
	s_cbranch_scc0 .LBB18_1412
; %bb.1401:
	global_load_ubyte v3, v[4:5], off
	s_movk_i32 s10, 0x7f
	s_waitcnt vmcnt(0)
	v_cmp_lt_i16_e32 vcc, s10, v3
	s_mov_b64 s[10:11], 0
	s_and_saveexec_b64 s[16:17], vcc
	s_xor_b64 s[16:17], exec, s[16:17]
	s_cbranch_execz .LBB18_1424
; %bb.1402:
	s_movk_i32 s10, 0x80
	v_cmp_eq_u16_e32 vcc, s10, v3
	s_mov_b64 s[10:11], -1
	s_and_saveexec_b64 s[18:19], vcc
; %bb.1403:
	s_xor_b64 s[10:11], exec, -1
; %bb.1404:
	s_or_b64 exec, exec, s[18:19]
	s_and_b64 s[10:11], s[10:11], exec
	s_or_saveexec_b64 s[16:17], s[16:17]
	v_mov_b32_e32 v1, 0x7f800001
	s_xor_b64 exec, exec, s[16:17]
	s_cbranch_execnz .LBB18_1425
.LBB18_1405:
	s_or_b64 exec, exec, s[16:17]
	s_and_saveexec_b64 s[16:17], s[10:11]
	s_cbranch_execz .LBB18_1407
.LBB18_1406:
	v_lshlrev_b32_e32 v1, 24, v3
	v_and_b32_e32 v3, 0xffff, v3
	v_and_b32_e32 v7, 3, v3
	v_ffbh_u32_e32 v10, v7
	v_min_u32_e32 v10, 32, v10
	v_subrev_u32_e32 v11, 29, v10
	v_bfe_u32 v9, v3, 2, 5
	v_lshlrev_b32_e32 v3, v11, v3
	v_sub_u32_e32 v10, 30, v10
	v_and_b32_e32 v3, 3, v3
	v_cmp_eq_u32_e32 vcc, 0, v9
	v_and_b32_e32 v1, 0x80000000, v1
	s_nop 0
	v_cndmask_b32_e32 v9, v9, v10, vcc
	v_cndmask_b32_e32 v3, v7, v3, vcc
	v_mov_b32_e32 v7, 0x37800000
	v_lshlrev_b32_e32 v3, 21, v3
	v_lshl_add_u32 v7, v9, 23, v7
	v_or3_b32 v1, v1, v7, v3
.LBB18_1407:
	s_or_b64 exec, exec, s[16:17]
	s_mov_b64 s[10:11], 0
	s_branch .LBB18_1413
.LBB18_1408:
	s_mov_b64 s[10:11], -1
                                        ; implicit-def: $vgpr1
	s_branch .LBB18_1419
.LBB18_1409:
	s_or_saveexec_b64 s[18:19], s[18:19]
	v_mov_b32_e32 v1, 0x7f800001
	s_xor_b64 exec, exec, s[18:19]
	s_cbranch_execz .LBB18_1392
.LBB18_1410:
	v_cmp_ne_u16_e32 vcc, 0, v3
	s_andn2_b64 s[16:17], s[16:17], exec
	s_and_b64 s[20:21], vcc, exec
	v_mov_b32_e32 v1, 0
	s_or_b64 s[16:17], s[16:17], s[20:21]
	s_or_b64 exec, exec, s[18:19]
	s_and_saveexec_b64 s[18:19], s[16:17]
	s_cbranch_execnz .LBB18_1393
	s_branch .LBB18_1394
.LBB18_1411:
	s_mov_b64 s[10:11], -1
                                        ; implicit-def: $vgpr1
	s_branch .LBB18_1416
.LBB18_1412:
	s_mov_b64 s[10:11], -1
                                        ; implicit-def: $vgpr1
.LBB18_1413:
	s_and_b64 vcc, exec, s[10:11]
	s_cbranch_vccz .LBB18_1415
; %bb.1414:
	global_load_ubyte v1, v[4:5], off
	s_mov_b32 s10, 0x7f800000
	s_waitcnt vmcnt(0)
	v_lshlrev_b32_e32 v1, 24, v1
	v_and_b32_e32 v3, 0x7f000000, v1
	v_ffbh_u32_e32 v7, v3
	v_min_u32_e32 v7, 32, v7
	v_sub_u32_e64 v7, v7, 4 clamp
	v_lshlrev_b32_e32 v10, v7, v3
	v_lshlrev_b32_e32 v7, 23, v7
	v_lshrrev_b32_e32 v10, 4, v10
	v_add_u32_e32 v9, 0x1000000, v3
	v_sub_u32_e32 v7, v10, v7
	v_ashrrev_i32_e32 v9, 8, v9
	v_add_u32_e32 v7, 0x3c000000, v7
	v_and_or_b32 v7, v9, s10, v7
	v_cmp_ne_u32_e32 vcc, 0, v3
	s_brev_b32 s10, 1
	s_nop 0
	v_cndmask_b32_e32 v3, 0, v7, vcc
	v_and_or_b32 v1, v1, s10, v3
.LBB18_1415:
	s_mov_b64 s[10:11], 0
.LBB18_1416:
	s_andn2_b64 vcc, exec, s[10:11]
	s_cbranch_vccnz .LBB18_1418
; %bb.1417:
	global_load_ubyte v1, v[4:5], off
	s_movk_i32 s10, 0x7f00
	s_brev_b32 s11, 16
	s_waitcnt vmcnt(0)
	v_lshlrev_b16_e32 v3, 8, v1
	v_lshlrev_b32_e32 v1, 25, v1
	v_lshrrev_b32_e32 v7, 4, v1
	v_and_or_b32 v9, v3, s10, 0.5
	v_or_b32_e32 v7, 0x70000000, v7
	v_add_f32_e32 v9, -0.5, v9
	v_mul_f32_e32 v7, 0x7800000, v7
	v_cmp_gt_u32_e32 vcc, s11, v1
	v_bfe_i32 v3, v3, 0, 16
	s_brev_b32 s10, 1
	v_cndmask_b32_e32 v1, v7, v9, vcc
	v_and_or_b32 v1, v3, s10, v1
.LBB18_1418:
	s_mov_b64 s[10:11], 0
	s_mov_b64 s[16:17], -1
.LBB18_1419:
	s_andn2_b64 vcc, exec, s[10:11]
	s_mov_b64 s[10:11], 0
	s_cbranch_vccnz .LBB18_1430
; %bb.1420:
	s_cmp_gt_i32 s22, 14
	s_cbranch_scc0 .LBB18_1423
; %bb.1421:
	s_cmp_eq_u32 s22, 15
	s_cbranch_scc0 .LBB18_1426
; %bb.1422:
	global_load_ushort v1, v[4:5], off
	s_mov_b64 s[0:1], 0
	s_mov_b64 s[16:17], -1
	s_waitcnt vmcnt(0)
	v_lshlrev_b32_e32 v1, 16, v1
	s_branch .LBB18_1427
.LBB18_1423:
	s_mov_b64 s[18:19], -1
                                        ; implicit-def: $vgpr1
	s_branch .LBB18_1428
.LBB18_1424:
	s_or_saveexec_b64 s[16:17], s[16:17]
	v_mov_b32_e32 v1, 0x7f800001
	s_xor_b64 exec, exec, s[16:17]
	s_cbranch_execz .LBB18_1405
.LBB18_1425:
	v_cmp_ne_u16_e32 vcc, 0, v3
	s_andn2_b64 s[10:11], s[10:11], exec
	s_and_b64 s[18:19], vcc, exec
	v_mov_b32_e32 v1, 0
	s_or_b64 s[10:11], s[10:11], s[18:19]
	s_or_b64 exec, exec, s[16:17]
	s_and_saveexec_b64 s[16:17], s[10:11]
	s_cbranch_execnz .LBB18_1406
	s_branch .LBB18_1407
.LBB18_1426:
	s_mov_b64 s[0:1], -1
                                        ; implicit-def: $vgpr1
.LBB18_1427:
	s_mov_b64 s[18:19], 0
.LBB18_1428:
	s_and_b64 vcc, exec, s[18:19]
	s_cbranch_vccz .LBB18_1430
; %bb.1429:
	s_cmp_lg_u32 s22, 11
	s_mov_b64 s[10:11], -1
	s_cselect_b64 s[0:1], -1, 0
.LBB18_1430:
	s_and_b64 vcc, exec, s[0:1]
	s_cbranch_vccnz .LBB18_1505
; %bb.1431:
	s_andn2_b64 vcc, exec, s[10:11]
	s_cbranch_vccnz .LBB18_1433
.LBB18_1432:
	global_load_ubyte v1, v[4:5], off
	s_mov_b64 s[16:17], -1
	s_waitcnt vmcnt(0)
	v_cmp_ne_u16_e32 vcc, 0, v1
	s_nop 1
	v_cndmask_b32_e64 v1, 0, 1.0, vcc
.LBB18_1433:
	s_branch .LBB18_1361
.LBB18_1434:
	s_cmp_lt_i32 s22, 5
	s_cbranch_scc1 .LBB18_1439
; %bb.1435:
	s_cmp_lt_i32 s22, 8
	s_cbranch_scc1 .LBB18_1440
; %bb.1436:
	;; [unrolled: 3-line block ×3, first 2 shown]
	s_cmp_gt_i32 s22, 9
	s_cbranch_scc0 .LBB18_1442
; %bb.1438:
	global_load_dwordx2 v[10:11], v[4:5], off
	s_mov_b64 s[0:1], 0
	s_waitcnt vmcnt(0)
	v_cvt_f32_f64_e32 v1, v[10:11]
	s_branch .LBB18_1443
.LBB18_1439:
	s_mov_b64 s[0:1], -1
                                        ; implicit-def: $vgpr1
	s_branch .LBB18_1461
.LBB18_1440:
	s_mov_b64 s[0:1], -1
                                        ; implicit-def: $vgpr1
	s_branch .LBB18_1449
.LBB18_1441:
	s_mov_b64 s[0:1], -1
                                        ; implicit-def: $vgpr1
	s_branch .LBB18_1446
.LBB18_1442:
	s_mov_b64 s[0:1], -1
                                        ; implicit-def: $vgpr1
.LBB18_1443:
	s_andn2_b64 vcc, exec, s[0:1]
	s_cbranch_vccnz .LBB18_1445
; %bb.1444:
	global_load_dword v1, v[4:5], off
.LBB18_1445:
	s_mov_b64 s[0:1], 0
.LBB18_1446:
	s_andn2_b64 vcc, exec, s[0:1]
	s_cbranch_vccnz .LBB18_1448
; %bb.1447:
	global_load_dword v1, v[4:5], off
	s_waitcnt vmcnt(0)
	v_cvt_f32_f16_e32 v1, v1
.LBB18_1448:
	s_mov_b64 s[0:1], 0
.LBB18_1449:
	s_andn2_b64 vcc, exec, s[0:1]
	s_cbranch_vccnz .LBB18_1460
; %bb.1450:
	s_cmp_lt_i32 s22, 6
	s_cbranch_scc1 .LBB18_1453
; %bb.1451:
	s_cmp_gt_i32 s22, 6
	s_cbranch_scc0 .LBB18_1454
; %bb.1452:
	global_load_dwordx2 v[10:11], v[4:5], off
	s_mov_b64 s[0:1], 0
	s_waitcnt vmcnt(0)
	v_cvt_f32_f64_e32 v1, v[10:11]
	s_branch .LBB18_1455
.LBB18_1453:
	s_mov_b64 s[0:1], -1
                                        ; implicit-def: $vgpr1
	s_branch .LBB18_1458
.LBB18_1454:
	s_mov_b64 s[0:1], -1
                                        ; implicit-def: $vgpr1
.LBB18_1455:
	s_andn2_b64 vcc, exec, s[0:1]
	s_cbranch_vccnz .LBB18_1457
; %bb.1456:
	global_load_dword v1, v[4:5], off
.LBB18_1457:
	s_mov_b64 s[0:1], 0
.LBB18_1458:
	s_andn2_b64 vcc, exec, s[0:1]
	s_cbranch_vccnz .LBB18_1460
; %bb.1459:
	global_load_ushort v1, v[4:5], off
	s_waitcnt vmcnt(0)
	v_cvt_f32_f16_e32 v1, v1
.LBB18_1460:
	s_mov_b64 s[0:1], 0
.LBB18_1461:
	s_andn2_b64 vcc, exec, s[0:1]
	s_cbranch_vccnz .LBB18_1481
; %bb.1462:
	s_cmp_lt_i32 s22, 2
	s_cbranch_scc1 .LBB18_1466
; %bb.1463:
	s_cmp_lt_i32 s22, 3
	s_cbranch_scc1 .LBB18_1467
; %bb.1464:
	s_cmp_gt_i32 s22, 3
	s_cbranch_scc0 .LBB18_1468
; %bb.1465:
	global_load_dwordx2 v[10:11], v[4:5], off
	s_mov_b64 s[0:1], 0
	s_waitcnt vmcnt(0)
	v_xor_b32_e32 v3, v10, v11
	v_ffbh_i32_e32 v1, v11
	v_ashrrev_i32_e32 v3, 31, v3
	v_add_u32_e32 v1, -1, v1
	v_add_u32_e32 v3, 32, v3
	v_min_u32_e32 v1, v1, v3
	v_lshlrev_b64 v[10:11], v1, v[10:11]
	v_min_u32_e32 v3, 1, v10
	v_or_b32_e32 v3, v11, v3
	v_cvt_f32_i32_e32 v3, v3
	v_sub_u32_e32 v1, 32, v1
	v_ldexp_f32 v1, v3, v1
	s_branch .LBB18_1469
.LBB18_1466:
	s_mov_b64 s[0:1], -1
                                        ; implicit-def: $vgpr1
	s_branch .LBB18_1475
.LBB18_1467:
	s_mov_b64 s[0:1], -1
                                        ; implicit-def: $vgpr1
	s_branch .LBB18_1472
.LBB18_1468:
	s_mov_b64 s[0:1], -1
                                        ; implicit-def: $vgpr1
.LBB18_1469:
	s_andn2_b64 vcc, exec, s[0:1]
	s_cbranch_vccnz .LBB18_1471
; %bb.1470:
	global_load_dword v1, v[4:5], off
	s_waitcnt vmcnt(0)
	v_cvt_f32_i32_e32 v1, v1
.LBB18_1471:
	s_mov_b64 s[0:1], 0
.LBB18_1472:
	s_andn2_b64 vcc, exec, s[0:1]
	s_cbranch_vccnz .LBB18_1474
; %bb.1473:
	global_load_sshort v1, v[4:5], off
	s_waitcnt vmcnt(0)
	v_cvt_f32_i32_e32 v1, v1
.LBB18_1474:
	s_mov_b64 s[0:1], 0
.LBB18_1475:
	s_andn2_b64 vcc, exec, s[0:1]
	s_cbranch_vccnz .LBB18_1481
; %bb.1476:
	s_cmp_gt_i32 s22, 0
	s_cbranch_scc0 .LBB18_1478
; %bb.1477:
	global_load_sbyte v1, v[4:5], off
	s_mov_b64 s[0:1], 0
	s_waitcnt vmcnt(0)
	v_cvt_f32_i32_e32 v1, v1
	s_branch .LBB18_1479
.LBB18_1478:
	s_mov_b64 s[0:1], -1
                                        ; implicit-def: $vgpr1
.LBB18_1479:
	s_andn2_b64 vcc, exec, s[0:1]
	s_cbranch_vccnz .LBB18_1481
; %bb.1480:
	global_load_ubyte v1, v[4:5], off
	s_waitcnt vmcnt(0)
	v_cvt_f32_ubyte0_e32 v1, v1
.LBB18_1481:
.LBB18_1482:
	s_mov_b32 s0, 0x41000000
	s_waitcnt vmcnt(0)
	v_cmp_le_f32_e64 s[0:1], |v1|, s0
                                        ; implicit-def: $vgpr4
	s_and_saveexec_b64 s[10:11], s[0:1]
	s_xor_b64 s[10:11], exec, s[10:11]
	s_cbranch_execz .LBB18_1488
; %bb.1483:
	v_fma_f32 v3, |v1|, 0.5, -2.0
	v_mov_b32_e32 v4, 0xa3c2be86
	v_fmac_f32_e32 v4, 0x224cf950, v3
	v_fmaak_f32 v5, v3, v4, 0xa24cf950
	v_add_f32_e32 v5, 0x25331f1f, v5
	v_fma_f32 v4, v3, v5, -v4
	v_add_f32_e32 v4, 0xa69f5554, v4
	v_fma_f32 v5, v3, v4, -v5
	;; [unrolled: 2-line block ×25, first 2 shown]
	v_add_f32_e32 v4, 0xbe34a688, v4
	s_mov_b32 s0, 0x3fb8aa3b
	v_fma_f32 v3, v3, v4, -v5
	v_mul_f32_e64 v4, |v1|, s0
	v_rndne_f32_e32 v7, v4
	v_sub_f32_e32 v9, v4, v7
	v_fma_f32 v4, |v1|, s0, -v4
	s_mov_b32 s0, 0x32a5705f
	v_fma_f32 v4, |v1|, s0, v4
	v_add_f32_e32 v4, v9, v4
	v_exp_f32_e32 v4, v4
	v_cvt_i32_f32_e32 v7, v7
	s_mov_b32 s0, 0xc2ce8ed0
	v_add_f32_e32 v3, 0x3e81531c, v3
	v_cmp_nlt_f32_e64 s[0:1], |v1|, s0
	v_ldexp_f32 v4, v4, v7
	v_sub_f32_e32 v3, v3, v5
	v_cndmask_b32_e64 v4, 0, v4, s[0:1]
	s_mov_b32 s0, 0x42b17218
	v_mul_f32_e32 v3, 0.5, v3
	v_mov_b32_e32 v5, 0x7f800000
	v_cmp_ngt_f32_e64 s[0:1], |v1|, s0
	v_cmp_ngt_f32_e32 vcc, 0, v1
	v_mul_f32_e64 v3, |v1|, v3
	v_cndmask_b32_e64 v1, v5, v4, s[0:1]
                                        ; implicit-def: $vgpr4
	s_and_saveexec_b64 s[0:1], vcc
	s_xor_b64 s[0:1], exec, s[0:1]
; %bb.1484:
	v_mul_f32_e32 v4, v1, v3
                                        ; implicit-def: $vgpr1
                                        ; implicit-def: $vgpr3
; %bb.1485:
	s_andn2_saveexec_b64 s[0:1], s[0:1]
; %bb.1486:
	v_mul_f32_e64 v4, v3, -v1
; %bb.1487:
	s_or_b64 exec, exec, s[0:1]
                                        ; implicit-def: $vgpr1
.LBB18_1488:
	s_andn2_saveexec_b64 s[10:11], s[10:11]
	s_cbranch_execz .LBB18_1494
; %bb.1489:
	v_and_b32_e32 v3, 0x7fffffff, v1
	s_mov_b32 s16, 0x42000000
	v_div_scale_f32 v4, s[0:1], v3, v3, s16
	v_rcp_f32_e32 v5, v4
	v_div_scale_f32 v3, vcc, s16, v3, s16
	s_mov_b32 s0, 0x3fb8aa3b
	v_fma_f32 v7, -v4, v5, 1.0
	v_fmac_f32_e32 v5, v7, v5
	v_mul_f32_e32 v7, v3, v5
	v_fma_f32 v9, -v4, v7, v3
	v_fmac_f32_e32 v7, v9, v5
	v_fma_f32 v3, -v4, v7, v3
	v_div_fmas_f32 v3, v3, v5, v7
	v_div_fixup_f32 v3, v3, |v1|, s16
	v_add_f32_e32 v3, -2.0, v3
	v_mov_b32_e32 v4, 0x22a2dc57
	v_fmac_f32_e32 v4, 0x230aab6e, v3
	v_fmaak_f32 v5, v3, v4, 0xa30aab6e
	v_add_f32_e32 v5, 0xa456751e, v5
	v_fma_f32 v4, v3, v5, -v4
	v_add_f32_e32 v4, 0xa4140365, v4
	v_fma_f32 v5, v3, v4, -v5
	;; [unrolled: 2-line block ×18, first 2 shown]
	v_mul_f32_e64 v7, |v1|, s0
	v_add_f32_e32 v5, 0xb486dfe9, v5
	v_rndne_f32_e32 v9, v7
	v_fma_f32 v4, v3, v5, -v4
	v_sub_f32_e32 v10, v7, v9
	v_fma_f32 v7, |v1|, s0, -v7
	s_mov_b32 s0, 0x32a5705f
	v_add_f32_e32 v4, 0xb68246fa, v4
	v_fma_f32 v7, |v1|, s0, v7
	v_fma_f32 v5, v3, v4, -v5
	v_add_f32_e32 v7, v10, v7
	v_add_f32_e32 v5, 0xb8e7ebfc, v5
	v_exp_f32_e32 v7, v7
	v_cvt_i32_f32_e32 v9, v9
	v_fma_f32 v4, v3, v5, -v4
	v_add_f32_e32 v4, 0xbc1fed03, v4
	v_fma_f32 v3, v3, v4, -v5
	s_mov_b32 s0, 0xc2ce8ed0
	v_add_f32_e32 v4, 0x3f4750c6, v3
	v_ldexp_f32 v3, v7, v9
	v_cmp_nlt_f32_e64 s[0:1], |v1|, s0
	v_mov_b32_e32 v7, 0x7f800000
	v_cmp_ngt_f32_e32 vcc, 0, v1
	v_cndmask_b32_e64 v3, 0, v3, s[0:1]
	s_mov_b32 s0, 0x42b17218
	v_cmp_ngt_f32_e64 s[0:1], |v1|, s0
	v_sub_f32_e32 v5, v4, v5
                                        ; implicit-def: $vgpr4
	s_nop 0
	v_cndmask_b32_e64 v3, v7, v3, s[0:1]
	s_and_saveexec_b64 s[0:1], vcc
	s_xor_b64 s[16:17], exec, s[0:1]
	s_cbranch_execz .LBB18_1491
; %bb.1490:
	s_mov_b32 s0, 0xf800000
	s_mov_b32 s1, 0x4f800000
	v_mul_f32_e64 v4, |v1|, s1
	v_cmp_lt_f32_e64 vcc, |v1|, s0
	v_mul_f32_e32 v5, 0.5, v5
	v_mul_f32_e32 v3, v3, v5
	v_cndmask_b32_e64 v1, |v1|, v4, vcc
	v_sqrt_f32_e32 v4, v1
	s_nop 0
	v_add_u32_e32 v5, -1, v4
	v_fma_f32 v7, -v5, v4, v1
	v_cmp_ge_f32_e64 s[0:1], 0, v7
	v_add_u32_e32 v7, 1, v4
	s_nop 0
	v_cndmask_b32_e64 v5, v4, v5, s[0:1]
	v_fma_f32 v4, -v7, v4, v1
	v_cmp_lt_f32_e64 s[0:1], 0, v4
	s_nop 1
	v_cndmask_b32_e64 v4, v5, v7, s[0:1]
	v_mul_f32_e32 v5, 0x37800000, v4
	v_cndmask_b32_e32 v4, v4, v5, vcc
	v_mov_b32_e32 v5, 0x260
	v_cmp_class_f32_e32 vcc, v1, v5
	s_nop 1
	v_cndmask_b32_e32 v1, v4, v1, vcc
	v_div_scale_f32 v4, s[0:1], v1, v1, v3
	v_rcp_f32_e32 v5, v4
	s_nop 0
	v_fma_f32 v7, -v4, v5, 1.0
	v_fmac_f32_e32 v5, v7, v5
	v_div_scale_f32 v7, vcc, v3, v1, v3
	v_mul_f32_e32 v9, v7, v5
	v_fma_f32 v10, -v4, v9, v7
	v_fmac_f32_e32 v9, v10, v5
	v_fma_f32 v4, -v4, v9, v7
	v_div_fmas_f32 v4, v4, v5, v9
	v_div_fixup_f32 v4, v4, v1, v3
                                        ; implicit-def: $vgpr1
                                        ; implicit-def: $vgpr5
                                        ; implicit-def: $vgpr3
.LBB18_1491:
	s_andn2_saveexec_b64 s[16:17], s[16:17]
	s_cbranch_execz .LBB18_1493
; %bb.1492:
	s_mov_b32 s0, 0xf800000
	s_mov_b32 s1, 0x4f800000
	v_mul_f32_e64 v4, |v1|, s1
	v_cmp_lt_f32_e64 vcc, |v1|, s0
	s_nop 1
	v_cndmask_b32_e64 v1, |v1|, v4, vcc
	v_sqrt_f32_e32 v4, v1
	s_nop 0
	v_add_u32_e32 v7, -1, v4
	v_fma_f32 v9, -v7, v4, v1
	v_cmp_ge_f32_e64 s[0:1], 0, v9
	v_add_u32_e32 v9, 1, v4
	s_nop 0
	v_cndmask_b32_e64 v7, v4, v7, s[0:1]
	v_fma_f32 v4, -v9, v4, v1
	v_cmp_lt_f32_e64 s[0:1], 0, v4
	s_nop 1
	v_cndmask_b32_e64 v4, v7, v9, s[0:1]
	v_mul_f32_e32 v7, 0x37800000, v4
	v_cndmask_b32_e32 v4, v4, v7, vcc
	v_mov_b32_e32 v7, 0x260
	v_cmp_class_f32_e32 vcc, v1, v7
	s_nop 1
	v_cndmask_b32_e32 v1, v4, v1, vcc
	v_mul_f32_e32 v4, -0.5, v5
	v_mul_f32_e32 v3, v3, v4
	v_div_scale_f32 v4, s[0:1], v1, v1, v3
	v_rcp_f32_e32 v5, v4
	s_nop 0
	v_fma_f32 v7, -v4, v5, 1.0
	v_fmac_f32_e32 v5, v7, v5
	v_div_scale_f32 v7, vcc, v3, v1, v3
	v_mul_f32_e32 v9, v7, v5
	v_fma_f32 v10, -v4, v9, v7
	v_fmac_f32_e32 v9, v10, v5
	v_fma_f32 v4, -v4, v9, v7
	v_div_fmas_f32 v4, v4, v5, v9
	v_div_fixup_f32 v4, v4, v1, v3
.LBB18_1493:
	s_or_b64 exec, exec, s[16:17]
.LBB18_1494:
	s_or_b64 exec, exec, s[10:11]
	v_add_u32_e32 v6, s9, v6
	v_ashrrev_i32_e32 v7, 31, v6
	s_cmp_lt_i32 s22, 11
	v_lshl_add_u64 v[6:7], s[6:7], 0, v[6:7]
	s_cbranch_scc1 .LBB18_1501
; %bb.1495:
	s_cmp_gt_i32 s22, 25
	s_mov_b64 s[6:7], 0
	s_cbranch_scc0 .LBB18_1502
; %bb.1496:
	s_cmp_gt_i32 s22, 28
	s_cbranch_scc0 .LBB18_1503
; %bb.1497:
	s_cmp_gt_i32 s22, 43
	;; [unrolled: 3-line block ×3, first 2 shown]
	s_cbranch_scc0 .LBB18_1506
; %bb.1499:
	s_cmp_eq_u32 s22, 46
	s_mov_b64 s[16:17], 0
	s_cbranch_scc0 .LBB18_1507
; %bb.1500:
	global_load_dword v1, v[6:7], off
	s_mov_b64 s[0:1], 0
	s_mov_b64 s[10:11], -1
	s_waitcnt vmcnt(0)
	v_lshlrev_b32_e32 v1, 16, v1
	s_branch .LBB18_1508
.LBB18_1501:
	s_mov_b64 s[0:1], -1
	s_mov_b64 s[10:11], 0
                                        ; implicit-def: $vgpr1
	s_branch .LBB18_1574
.LBB18_1502:
	s_mov_b64 s[16:17], -1
	s_mov_b64 s[10:11], 0
	s_mov_b64 s[0:1], 0
                                        ; implicit-def: $vgpr1
	s_branch .LBB18_1537
.LBB18_1503:
	s_mov_b64 s[16:17], -1
	s_mov_b64 s[10:11], 0
	s_mov_b64 s[0:1], 0
                                        ; implicit-def: $vgpr1
	s_branch .LBB18_1518
.LBB18_1504:
	s_mov_b64 s[16:17], -1
	s_mov_b64 s[10:11], 0
	s_mov_b64 s[0:1], 0
                                        ; implicit-def: $vgpr1
	s_branch .LBB18_1513
.LBB18_1505:
	s_trap 2
	s_or_b64 s[14:15], s[14:15], exec
	s_cbranch_execz .LBB18_1432
	s_branch .LBB18_1433
.LBB18_1506:
	s_mov_b64 s[16:17], -1
	s_mov_b64 s[10:11], 0
	s_mov_b64 s[0:1], 0
                                        ; implicit-def: $vgpr1
	s_branch .LBB18_1508
.LBB18_1507:
	s_mov_b64 s[0:1], -1
                                        ; implicit-def: $vgpr1
	s_mov_b64 s[10:11], 0
.LBB18_1508:
	s_and_b64 vcc, exec, s[16:17]
	s_cbranch_vccz .LBB18_1512
; %bb.1509:
	s_cmp_eq_u32 s22, 44
	s_cbranch_scc0 .LBB18_1511
; %bb.1510:
	global_load_ubyte v1, v[6:7], off
	s_movk_i32 s9, 0xff
	v_mov_b32_e32 v3, 0x7f800001
	v_mov_b32_e32 v5, 0x400000
	s_mov_b64 s[0:1], 0
	s_mov_b64 s[10:11], -1
	s_waitcnt vmcnt(0)
	v_lshlrev_b32_e32 v9, 23, v1
	v_cmp_ne_u32_e32 vcc, s9, v1
	s_nop 1
	v_cndmask_b32_e32 v3, v3, v9, vcc
	v_cmp_ne_u32_e32 vcc, 0, v1
	s_nop 1
	v_cndmask_b32_e32 v1, v5, v3, vcc
	s_branch .LBB18_1512
.LBB18_1511:
	s_mov_b64 s[0:1], -1
                                        ; implicit-def: $vgpr1
.LBB18_1512:
	s_mov_b64 s[16:17], 0
.LBB18_1513:
	s_and_b64 vcc, exec, s[16:17]
	s_cbranch_vccz .LBB18_1517
; %bb.1514:
	s_cmp_eq_u32 s22, 29
	s_cbranch_scc0 .LBB18_1516
; %bb.1515:
	global_load_dwordx2 v[10:11], v[6:7], off
	s_mov_b64 s[0:1], 0
	s_mov_b64 s[10:11], -1
	s_mov_b64 s[16:17], 0
	s_waitcnt vmcnt(0)
	v_ffbh_u32_e32 v1, v11
	v_min_u32_e32 v1, 32, v1
	v_lshlrev_b64 v[10:11], v1, v[10:11]
	v_min_u32_e32 v3, 1, v10
	v_or_b32_e32 v3, v11, v3
	v_cvt_f32_u32_e32 v3, v3
	v_sub_u32_e32 v1, 32, v1
	v_ldexp_f32 v1, v3, v1
	s_branch .LBB18_1518
.LBB18_1516:
	s_mov_b64 s[0:1], -1
                                        ; implicit-def: $vgpr1
.LBB18_1517:
	s_mov_b64 s[16:17], 0
.LBB18_1518:
	s_and_b64 vcc, exec, s[16:17]
	s_cbranch_vccz .LBB18_1536
; %bb.1519:
	s_cmp_lt_i32 s22, 27
	s_cbranch_scc1 .LBB18_1522
; %bb.1520:
	s_cmp_gt_i32 s22, 27
	s_cbranch_scc0 .LBB18_1523
; %bb.1521:
	global_load_dword v1, v[6:7], off
	s_mov_b64 s[10:11], 0
	s_waitcnt vmcnt(0)
	v_cvt_f32_u32_e32 v1, v1
	s_branch .LBB18_1524
.LBB18_1522:
	s_mov_b64 s[10:11], -1
                                        ; implicit-def: $vgpr1
	s_branch .LBB18_1527
.LBB18_1523:
	s_mov_b64 s[10:11], -1
                                        ; implicit-def: $vgpr1
.LBB18_1524:
	s_andn2_b64 vcc, exec, s[10:11]
	s_cbranch_vccnz .LBB18_1526
; %bb.1525:
	global_load_ushort v1, v[6:7], off
	s_waitcnt vmcnt(0)
	v_cvt_f32_u32_e32 v1, v1
.LBB18_1526:
	s_mov_b64 s[10:11], 0
.LBB18_1527:
	s_andn2_b64 vcc, exec, s[10:11]
	s_cbranch_vccnz .LBB18_1535
; %bb.1528:
	global_load_ubyte v3, v[6:7], off
	s_movk_i32 s9, 0x7f
	s_mov_b64 s[10:11], 0
	s_waitcnt vmcnt(0)
	v_cmp_lt_i16_e32 vcc, s9, v3
	s_and_saveexec_b64 s[16:17], vcc
	s_xor_b64 s[16:17], exec, s[16:17]
	s_cbranch_execz .LBB18_1549
; %bb.1529:
	s_movk_i32 s9, 0x80
	v_cmp_eq_u16_e32 vcc, s9, v3
	s_mov_b64 s[10:11], -1
	s_and_saveexec_b64 s[18:19], vcc
; %bb.1530:
	s_xor_b64 s[10:11], exec, -1
; %bb.1531:
	s_or_b64 exec, exec, s[18:19]
	s_and_b64 s[10:11], s[10:11], exec
	s_or_saveexec_b64 s[16:17], s[16:17]
	v_mov_b32_e32 v1, 0x7f800001
	s_xor_b64 exec, exec, s[16:17]
	s_cbranch_execnz .LBB18_1550
.LBB18_1532:
	s_or_b64 exec, exec, s[16:17]
	s_and_saveexec_b64 s[16:17], s[10:11]
	s_cbranch_execz .LBB18_1534
.LBB18_1533:
	v_lshlrev_b32_e32 v1, 24, v3
	v_and_b32_e32 v3, 0xffff, v3
	v_and_b32_e32 v5, 7, v3
	v_ffbh_u32_e32 v10, v5
	v_min_u32_e32 v10, 32, v10
	v_subrev_u32_e32 v11, 28, v10
	v_bfe_u32 v9, v3, 3, 4
	v_lshlrev_b32_e32 v3, v11, v3
	v_sub_u32_e32 v10, 29, v10
	v_and_b32_e32 v3, 7, v3
	v_cmp_eq_u32_e32 vcc, 0, v9
	v_and_b32_e32 v1, 0x80000000, v1
	s_nop 0
	v_cndmask_b32_e32 v9, v9, v10, vcc
	v_cndmask_b32_e32 v3, v5, v3, vcc
	v_mov_b32_e32 v5, 0x3b800000
	v_lshlrev_b32_e32 v3, 20, v3
	v_lshl_add_u32 v5, v9, 23, v5
	v_or3_b32 v1, v1, v5, v3
.LBB18_1534:
	s_or_b64 exec, exec, s[16:17]
.LBB18_1535:
	s_mov_b64 s[10:11], -1
.LBB18_1536:
	s_mov_b64 s[16:17], 0
.LBB18_1537:
	s_and_b64 vcc, exec, s[16:17]
	s_cbranch_vccz .LBB18_1570
; %bb.1538:
	s_cmp_gt_i32 s22, 22
	s_cbranch_scc0 .LBB18_1548
; %bb.1539:
	s_cmp_lt_i32 s22, 24
	s_cbranch_scc1 .LBB18_1551
; %bb.1540:
	s_cmp_gt_i32 s22, 24
	s_cbranch_scc0 .LBB18_1552
; %bb.1541:
	global_load_ubyte v3, v[6:7], off
	s_movk_i32 s6, 0x7f
	s_waitcnt vmcnt(0)
	v_cmp_lt_i16_e32 vcc, s6, v3
	s_mov_b64 s[6:7], 0
	s_and_saveexec_b64 s[10:11], vcc
	s_xor_b64 s[10:11], exec, s[10:11]
	s_cbranch_execz .LBB18_1564
; %bb.1542:
	s_movk_i32 s6, 0x80
	v_cmp_eq_u16_e32 vcc, s6, v3
	s_mov_b64 s[6:7], -1
	s_and_saveexec_b64 s[16:17], vcc
; %bb.1543:
	s_xor_b64 s[6:7], exec, -1
; %bb.1544:
	s_or_b64 exec, exec, s[16:17]
	s_and_b64 s[6:7], s[6:7], exec
	s_or_saveexec_b64 s[10:11], s[10:11]
	v_mov_b32_e32 v1, 0x7f800001
	s_xor_b64 exec, exec, s[10:11]
	s_cbranch_execnz .LBB18_1565
.LBB18_1545:
	s_or_b64 exec, exec, s[10:11]
	s_and_saveexec_b64 s[10:11], s[6:7]
	s_cbranch_execz .LBB18_1547
.LBB18_1546:
	v_lshlrev_b32_e32 v1, 24, v3
	v_and_b32_e32 v3, 0xffff, v3
	v_and_b32_e32 v5, 3, v3
	v_ffbh_u32_e32 v10, v5
	v_min_u32_e32 v10, 32, v10
	v_subrev_u32_e32 v11, 29, v10
	v_bfe_u32 v9, v3, 2, 5
	v_lshlrev_b32_e32 v3, v11, v3
	v_sub_u32_e32 v10, 30, v10
	v_and_b32_e32 v3, 3, v3
	v_cmp_eq_u32_e32 vcc, 0, v9
	v_and_b32_e32 v1, 0x80000000, v1
	s_nop 0
	v_cndmask_b32_e32 v9, v9, v10, vcc
	v_cndmask_b32_e32 v3, v5, v3, vcc
	v_mov_b32_e32 v5, 0x37800000
	v_lshlrev_b32_e32 v3, 21, v3
	v_lshl_add_u32 v5, v9, 23, v5
	v_or3_b32 v1, v1, v5, v3
.LBB18_1547:
	s_or_b64 exec, exec, s[10:11]
	s_mov_b64 s[6:7], 0
	s_branch .LBB18_1553
.LBB18_1548:
	s_mov_b64 s[6:7], -1
                                        ; implicit-def: $vgpr1
	s_branch .LBB18_1559
.LBB18_1549:
	s_or_saveexec_b64 s[16:17], s[16:17]
	v_mov_b32_e32 v1, 0x7f800001
	s_xor_b64 exec, exec, s[16:17]
	s_cbranch_execz .LBB18_1532
.LBB18_1550:
	v_cmp_ne_u16_e32 vcc, 0, v3
	s_andn2_b64 s[10:11], s[10:11], exec
	s_and_b64 s[18:19], vcc, exec
	v_mov_b32_e32 v1, 0
	s_or_b64 s[10:11], s[10:11], s[18:19]
	s_or_b64 exec, exec, s[16:17]
	s_and_saveexec_b64 s[16:17], s[10:11]
	s_cbranch_execnz .LBB18_1533
	s_branch .LBB18_1534
.LBB18_1551:
	s_mov_b64 s[6:7], -1
                                        ; implicit-def: $vgpr1
	s_branch .LBB18_1556
.LBB18_1552:
	s_mov_b64 s[6:7], -1
                                        ; implicit-def: $vgpr1
.LBB18_1553:
	s_and_b64 vcc, exec, s[6:7]
	s_cbranch_vccz .LBB18_1555
; %bb.1554:
	global_load_ubyte v1, v[6:7], off
	s_mov_b32 s6, 0x7f800000
	s_waitcnt vmcnt(0)
	v_lshlrev_b32_e32 v1, 24, v1
	v_and_b32_e32 v3, 0x7f000000, v1
	v_ffbh_u32_e32 v5, v3
	v_min_u32_e32 v5, 32, v5
	v_sub_u32_e64 v5, v5, 4 clamp
	v_lshlrev_b32_e32 v10, v5, v3
	v_lshlrev_b32_e32 v5, 23, v5
	v_lshrrev_b32_e32 v10, 4, v10
	v_add_u32_e32 v9, 0x1000000, v3
	v_sub_u32_e32 v5, v10, v5
	v_ashrrev_i32_e32 v9, 8, v9
	v_add_u32_e32 v5, 0x3c000000, v5
	v_and_or_b32 v5, v9, s6, v5
	v_cmp_ne_u32_e32 vcc, 0, v3
	s_brev_b32 s6, 1
	s_nop 0
	v_cndmask_b32_e32 v3, 0, v5, vcc
	v_and_or_b32 v1, v1, s6, v3
.LBB18_1555:
	s_mov_b64 s[6:7], 0
.LBB18_1556:
	s_andn2_b64 vcc, exec, s[6:7]
	s_cbranch_vccnz .LBB18_1558
; %bb.1557:
	global_load_ubyte v1, v[6:7], off
	s_movk_i32 s6, 0x7f00
	s_brev_b32 s7, 16
	s_waitcnt vmcnt(0)
	v_lshlrev_b16_e32 v3, 8, v1
	v_lshlrev_b32_e32 v1, 25, v1
	v_lshrrev_b32_e32 v5, 4, v1
	v_and_or_b32 v9, v3, s6, 0.5
	v_or_b32_e32 v5, 0x70000000, v5
	v_add_f32_e32 v9, -0.5, v9
	v_mul_f32_e32 v5, 0x7800000, v5
	v_cmp_gt_u32_e32 vcc, s7, v1
	v_bfe_i32 v3, v3, 0, 16
	s_brev_b32 s6, 1
	v_cndmask_b32_e32 v1, v5, v9, vcc
	v_and_or_b32 v1, v3, s6, v1
.LBB18_1558:
	s_mov_b64 s[6:7], 0
	s_mov_b64 s[10:11], -1
.LBB18_1559:
	s_andn2_b64 vcc, exec, s[6:7]
	s_mov_b64 s[6:7], 0
	s_cbranch_vccnz .LBB18_1570
; %bb.1560:
	s_cmp_gt_i32 s22, 14
	s_cbranch_scc0 .LBB18_1563
; %bb.1561:
	s_cmp_eq_u32 s22, 15
	s_cbranch_scc0 .LBB18_1566
; %bb.1562:
	global_load_ushort v1, v[6:7], off
	s_mov_b64 s[0:1], 0
	s_mov_b64 s[10:11], -1
	s_waitcnt vmcnt(0)
	v_lshlrev_b32_e32 v1, 16, v1
	s_branch .LBB18_1567
.LBB18_1563:
	s_mov_b64 s[16:17], -1
                                        ; implicit-def: $vgpr1
	s_branch .LBB18_1568
.LBB18_1564:
	s_or_saveexec_b64 s[10:11], s[10:11]
	v_mov_b32_e32 v1, 0x7f800001
	s_xor_b64 exec, exec, s[10:11]
	s_cbranch_execz .LBB18_1545
.LBB18_1565:
	v_cmp_ne_u16_e32 vcc, 0, v3
	s_andn2_b64 s[6:7], s[6:7], exec
	s_and_b64 s[16:17], vcc, exec
	v_mov_b32_e32 v1, 0
	s_or_b64 s[6:7], s[6:7], s[16:17]
	s_or_b64 exec, exec, s[10:11]
	s_and_saveexec_b64 s[10:11], s[6:7]
	s_cbranch_execnz .LBB18_1546
	s_branch .LBB18_1547
.LBB18_1566:
	s_mov_b64 s[0:1], -1
                                        ; implicit-def: $vgpr1
.LBB18_1567:
	s_mov_b64 s[16:17], 0
.LBB18_1568:
	s_and_b64 vcc, exec, s[16:17]
	s_cbranch_vccz .LBB18_1570
; %bb.1569:
	s_cmp_lg_u32 s22, 11
	s_mov_b64 s[6:7], -1
	s_cselect_b64 s[0:1], -1, 0
.LBB18_1570:
	s_and_b64 vcc, exec, s[0:1]
	s_cbranch_vccnz .LBB18_2117
; %bb.1571:
	s_andn2_b64 vcc, exec, s[6:7]
	s_cbranch_vccnz .LBB18_1573
.LBB18_1572:
	global_load_ubyte v1, v[6:7], off
	s_mov_b64 s[10:11], -1
	s_waitcnt vmcnt(0)
	v_cmp_ne_u16_e32 vcc, 0, v1
	s_nop 1
	v_cndmask_b32_e64 v1, 0, 1.0, vcc
.LBB18_1573:
	s_mov_b64 s[0:1], 0
.LBB18_1574:
	s_and_b64 vcc, exec, s[0:1]
	s_cbranch_vccz .LBB18_1623
; %bb.1575:
	s_cmp_lt_i32 s22, 5
	s_cbranch_scc1 .LBB18_1580
; %bb.1576:
	s_cmp_lt_i32 s22, 8
	s_cbranch_scc1 .LBB18_1581
	;; [unrolled: 3-line block ×3, first 2 shown]
; %bb.1578:
	s_cmp_gt_i32 s22, 9
	s_cbranch_scc0 .LBB18_1583
; %bb.1579:
	global_load_dwordx2 v[10:11], v[6:7], off
	s_mov_b64 s[0:1], 0
	s_waitcnt vmcnt(0)
	v_cvt_f32_f64_e32 v1, v[10:11]
	s_branch .LBB18_1584
.LBB18_1580:
	s_mov_b64 s[0:1], -1
                                        ; implicit-def: $vgpr1
	s_branch .LBB18_1602
.LBB18_1581:
	s_mov_b64 s[0:1], -1
                                        ; implicit-def: $vgpr1
	s_branch .LBB18_1590
.LBB18_1582:
	s_mov_b64 s[0:1], -1
                                        ; implicit-def: $vgpr1
	s_branch .LBB18_1587
.LBB18_1583:
	s_mov_b64 s[0:1], -1
                                        ; implicit-def: $vgpr1
.LBB18_1584:
	s_andn2_b64 vcc, exec, s[0:1]
	s_cbranch_vccnz .LBB18_1586
; %bb.1585:
	global_load_dword v1, v[6:7], off
.LBB18_1586:
	s_mov_b64 s[0:1], 0
.LBB18_1587:
	s_andn2_b64 vcc, exec, s[0:1]
	s_cbranch_vccnz .LBB18_1589
; %bb.1588:
	global_load_dword v1, v[6:7], off
	s_waitcnt vmcnt(0)
	v_cvt_f32_f16_e32 v1, v1
.LBB18_1589:
	s_mov_b64 s[0:1], 0
.LBB18_1590:
	s_andn2_b64 vcc, exec, s[0:1]
	s_cbranch_vccnz .LBB18_1601
; %bb.1591:
	s_cmp_lt_i32 s22, 6
	s_cbranch_scc1 .LBB18_1594
; %bb.1592:
	s_cmp_gt_i32 s22, 6
	s_cbranch_scc0 .LBB18_1595
; %bb.1593:
	global_load_dwordx2 v[10:11], v[6:7], off
	s_mov_b64 s[0:1], 0
	s_waitcnt vmcnt(0)
	v_cvt_f32_f64_e32 v1, v[10:11]
	s_branch .LBB18_1596
.LBB18_1594:
	s_mov_b64 s[0:1], -1
                                        ; implicit-def: $vgpr1
	s_branch .LBB18_1599
.LBB18_1595:
	s_mov_b64 s[0:1], -1
                                        ; implicit-def: $vgpr1
.LBB18_1596:
	s_andn2_b64 vcc, exec, s[0:1]
	s_cbranch_vccnz .LBB18_1598
; %bb.1597:
	global_load_dword v1, v[6:7], off
.LBB18_1598:
	s_mov_b64 s[0:1], 0
.LBB18_1599:
	s_andn2_b64 vcc, exec, s[0:1]
	s_cbranch_vccnz .LBB18_1601
; %bb.1600:
	global_load_ushort v1, v[6:7], off
	s_waitcnt vmcnt(0)
	v_cvt_f32_f16_e32 v1, v1
.LBB18_1601:
	s_mov_b64 s[0:1], 0
.LBB18_1602:
	s_andn2_b64 vcc, exec, s[0:1]
	s_cbranch_vccnz .LBB18_1622
; %bb.1603:
	s_cmp_lt_i32 s22, 2
	s_cbranch_scc1 .LBB18_1607
; %bb.1604:
	s_cmp_lt_i32 s22, 3
	s_cbranch_scc1 .LBB18_1608
; %bb.1605:
	s_cmp_gt_i32 s22, 3
	s_cbranch_scc0 .LBB18_1609
; %bb.1606:
	global_load_dwordx2 v[10:11], v[6:7], off
	s_mov_b64 s[0:1], 0
	s_waitcnt vmcnt(0)
	v_xor_b32_e32 v3, v10, v11
	v_ffbh_i32_e32 v1, v11
	v_ashrrev_i32_e32 v3, 31, v3
	v_add_u32_e32 v1, -1, v1
	v_add_u32_e32 v3, 32, v3
	v_min_u32_e32 v1, v1, v3
	v_lshlrev_b64 v[10:11], v1, v[10:11]
	v_min_u32_e32 v3, 1, v10
	v_or_b32_e32 v3, v11, v3
	v_cvt_f32_i32_e32 v3, v3
	v_sub_u32_e32 v1, 32, v1
	v_ldexp_f32 v1, v3, v1
	s_branch .LBB18_1610
.LBB18_1607:
	s_mov_b64 s[0:1], -1
                                        ; implicit-def: $vgpr1
	s_branch .LBB18_1616
.LBB18_1608:
	s_mov_b64 s[0:1], -1
                                        ; implicit-def: $vgpr1
	s_branch .LBB18_1613
.LBB18_1609:
	s_mov_b64 s[0:1], -1
                                        ; implicit-def: $vgpr1
.LBB18_1610:
	s_andn2_b64 vcc, exec, s[0:1]
	s_cbranch_vccnz .LBB18_1612
; %bb.1611:
	global_load_dword v1, v[6:7], off
	s_waitcnt vmcnt(0)
	v_cvt_f32_i32_e32 v1, v1
.LBB18_1612:
	s_mov_b64 s[0:1], 0
.LBB18_1613:
	s_andn2_b64 vcc, exec, s[0:1]
	s_cbranch_vccnz .LBB18_1615
; %bb.1614:
	global_load_sshort v1, v[6:7], off
	s_waitcnt vmcnt(0)
	v_cvt_f32_i32_e32 v1, v1
.LBB18_1615:
	s_mov_b64 s[0:1], 0
.LBB18_1616:
	s_andn2_b64 vcc, exec, s[0:1]
	s_cbranch_vccnz .LBB18_1622
; %bb.1617:
	s_cmp_gt_i32 s22, 0
	s_cbranch_scc0 .LBB18_1619
; %bb.1618:
	global_load_sbyte v1, v[6:7], off
	s_mov_b64 s[0:1], 0
	s_waitcnt vmcnt(0)
	v_cvt_f32_i32_e32 v1, v1
	s_branch .LBB18_1620
.LBB18_1619:
	s_mov_b64 s[0:1], -1
                                        ; implicit-def: $vgpr1
.LBB18_1620:
	s_andn2_b64 vcc, exec, s[0:1]
	s_cbranch_vccnz .LBB18_1622
; %bb.1621:
	global_load_ubyte v1, v[6:7], off
	s_waitcnt vmcnt(0)
	v_cvt_f32_ubyte0_e32 v1, v1
.LBB18_1622:
	s_mov_b64 s[10:11], -1
.LBB18_1623:
	s_andn2_b64 vcc, exec, s[10:11]
	s_cbranch_vccnz .LBB18_1714
; %bb.1624:
	s_mov_b32 s0, 0x41000000
	s_waitcnt vmcnt(0)
	v_cmp_le_f32_e64 s[0:1], |v1|, s0
                                        ; implicit-def: $vgpr6
	s_and_saveexec_b64 s[6:7], s[0:1]
	s_xor_b64 s[6:7], exec, s[6:7]
	s_cbranch_execz .LBB18_1630
; %bb.1625:
	v_fma_f32 v3, |v1|, 0.5, -2.0
	v_mov_b32_e32 v5, 0xa3c2be86
	v_fmac_f32_e32 v5, 0x224cf950, v3
	v_fmaak_f32 v6, v3, v5, 0xa24cf950
	v_add_f32_e32 v6, 0x25331f1f, v6
	v_fma_f32 v5, v3, v6, -v5
	v_add_f32_e32 v5, 0xa69f5554, v5
	v_fma_f32 v6, v3, v5, -v6
	;; [unrolled: 2-line block ×25, first 2 shown]
	v_add_f32_e32 v5, 0xbe34a688, v5
	s_mov_b32 s0, 0x3fb8aa3b
	v_fma_f32 v3, v3, v5, -v6
	v_mul_f32_e64 v5, |v1|, s0
	v_rndne_f32_e32 v7, v5
	v_sub_f32_e32 v9, v5, v7
	v_fma_f32 v5, |v1|, s0, -v5
	s_mov_b32 s0, 0x32a5705f
	v_fma_f32 v5, |v1|, s0, v5
	v_add_f32_e32 v5, v9, v5
	v_exp_f32_e32 v5, v5
	v_cvt_i32_f32_e32 v7, v7
	s_mov_b32 s0, 0xc2ce8ed0
	v_add_f32_e32 v3, 0x3e81531c, v3
	v_cmp_nlt_f32_e64 s[0:1], |v1|, s0
	v_ldexp_f32 v5, v5, v7
	v_sub_f32_e32 v3, v3, v6
	v_cndmask_b32_e64 v5, 0, v5, s[0:1]
	s_mov_b32 s0, 0x42b17218
	v_mul_f32_e32 v3, 0.5, v3
	v_mov_b32_e32 v6, 0x7f800000
	v_cmp_ngt_f32_e64 s[0:1], |v1|, s0
	v_cmp_ngt_f32_e32 vcc, 0, v1
	v_mul_f32_e64 v3, |v1|, v3
	v_cndmask_b32_e64 v1, v6, v5, s[0:1]
                                        ; implicit-def: $vgpr6
	s_and_saveexec_b64 s[0:1], vcc
	s_xor_b64 s[0:1], exec, s[0:1]
; %bb.1626:
	v_mul_f32_e32 v6, v1, v3
                                        ; implicit-def: $vgpr1
                                        ; implicit-def: $vgpr3
; %bb.1627:
	s_andn2_saveexec_b64 s[0:1], s[0:1]
; %bb.1628:
	v_mul_f32_e64 v6, v3, -v1
; %bb.1629:
	s_or_b64 exec, exec, s[0:1]
                                        ; implicit-def: $vgpr1
.LBB18_1630:
	s_andn2_saveexec_b64 s[6:7], s[6:7]
	s_cbranch_execz .LBB18_1636
; %bb.1631:
	v_and_b32_e32 v3, 0x7fffffff, v1
	s_mov_b32 s9, 0x42000000
	v_div_scale_f32 v5, s[0:1], v3, v3, s9
	v_rcp_f32_e32 v6, v5
	v_div_scale_f32 v3, vcc, s9, v3, s9
	s_mov_b32 s0, 0x3fb8aa3b
	v_fma_f32 v7, -v5, v6, 1.0
	v_fmac_f32_e32 v6, v7, v6
	v_mul_f32_e32 v7, v3, v6
	v_fma_f32 v9, -v5, v7, v3
	v_fmac_f32_e32 v7, v9, v6
	v_fma_f32 v3, -v5, v7, v3
	v_div_fmas_f32 v3, v3, v6, v7
	v_div_fixup_f32 v3, v3, |v1|, s9
	v_add_f32_e32 v3, -2.0, v3
	v_mov_b32_e32 v5, 0x22a2dc57
	v_fmac_f32_e32 v5, 0x230aab6e, v3
	v_fmaak_f32 v6, v3, v5, 0xa30aab6e
	v_add_f32_e32 v6, 0xa456751e, v6
	v_fma_f32 v5, v3, v6, -v5
	v_add_f32_e32 v5, 0xa4140365, v5
	v_fma_f32 v6, v3, v5, -v6
	;; [unrolled: 2-line block ×18, first 2 shown]
	v_mul_f32_e64 v7, |v1|, s0
	v_add_f32_e32 v6, 0xb486dfe9, v6
	v_rndne_f32_e32 v9, v7
	v_fma_f32 v5, v3, v6, -v5
	v_sub_f32_e32 v10, v7, v9
	v_fma_f32 v7, |v1|, s0, -v7
	s_mov_b32 s0, 0x32a5705f
	v_add_f32_e32 v5, 0xb68246fa, v5
	v_fma_f32 v7, |v1|, s0, v7
	v_fma_f32 v6, v3, v5, -v6
	v_add_f32_e32 v7, v10, v7
	v_add_f32_e32 v6, 0xb8e7ebfc, v6
	v_exp_f32_e32 v7, v7
	v_cvt_i32_f32_e32 v9, v9
	v_fma_f32 v5, v3, v6, -v5
	v_add_f32_e32 v5, 0xbc1fed03, v5
	v_fma_f32 v3, v3, v5, -v6
	s_mov_b32 s0, 0xc2ce8ed0
	v_add_f32_e32 v5, 0x3f4750c6, v3
	v_ldexp_f32 v3, v7, v9
	v_cmp_nlt_f32_e64 s[0:1], |v1|, s0
	v_mov_b32_e32 v7, 0x7f800000
	v_cmp_ngt_f32_e32 vcc, 0, v1
	v_cndmask_b32_e64 v3, 0, v3, s[0:1]
	s_mov_b32 s0, 0x42b17218
	v_cmp_ngt_f32_e64 s[0:1], |v1|, s0
	v_sub_f32_e32 v5, v5, v6
                                        ; implicit-def: $vgpr6
	s_nop 0
	v_cndmask_b32_e64 v3, v7, v3, s[0:1]
	s_and_saveexec_b64 s[0:1], vcc
	s_xor_b64 s[10:11], exec, s[0:1]
	s_cbranch_execz .LBB18_1633
; %bb.1632:
	s_mov_b32 s0, 0xf800000
	s_mov_b32 s1, 0x4f800000
	v_mul_f32_e64 v6, |v1|, s1
	v_cmp_lt_f32_e64 vcc, |v1|, s0
	v_mul_f32_e32 v5, 0.5, v5
	v_mul_f32_e32 v3, v3, v5
	v_cndmask_b32_e64 v1, |v1|, v6, vcc
	v_sqrt_f32_e32 v6, v1
	s_nop 0
	v_add_u32_e32 v5, -1, v6
	v_fma_f32 v7, -v5, v6, v1
	v_cmp_ge_f32_e64 s[0:1], 0, v7
	v_add_u32_e32 v7, 1, v6
	s_nop 0
	v_cndmask_b32_e64 v5, v6, v5, s[0:1]
	v_fma_f32 v6, -v7, v6, v1
	v_cmp_lt_f32_e64 s[0:1], 0, v6
	s_nop 1
	v_cndmask_b32_e64 v5, v5, v7, s[0:1]
	v_mul_f32_e32 v6, 0x37800000, v5
	v_cndmask_b32_e32 v5, v5, v6, vcc
	v_mov_b32_e32 v6, 0x260
	v_cmp_class_f32_e32 vcc, v1, v6
	s_nop 1
	v_cndmask_b32_e32 v1, v5, v1, vcc
	v_div_scale_f32 v5, s[0:1], v1, v1, v3
	v_rcp_f32_e32 v6, v5
	s_nop 0
	v_fma_f32 v7, -v5, v6, 1.0
	v_fmac_f32_e32 v6, v7, v6
	v_div_scale_f32 v7, vcc, v3, v1, v3
	v_mul_f32_e32 v9, v7, v6
	v_fma_f32 v10, -v5, v9, v7
	v_fmac_f32_e32 v9, v10, v6
	v_fma_f32 v5, -v5, v9, v7
	v_div_fmas_f32 v5, v5, v6, v9
	v_div_fixup_f32 v6, v5, v1, v3
                                        ; implicit-def: $vgpr1
                                        ; implicit-def: $vgpr5
                                        ; implicit-def: $vgpr3
.LBB18_1633:
	s_andn2_saveexec_b64 s[10:11], s[10:11]
	s_cbranch_execz .LBB18_1635
; %bb.1634:
	s_mov_b32 s0, 0xf800000
	s_mov_b32 s1, 0x4f800000
	v_mul_f32_e64 v6, |v1|, s1
	v_cmp_lt_f32_e64 vcc, |v1|, s0
	v_mul_f32_e32 v5, -0.5, v5
	v_mul_f32_e32 v3, v3, v5
	v_cndmask_b32_e64 v1, |v1|, v6, vcc
	v_sqrt_f32_e32 v6, v1
	s_nop 0
	v_add_u32_e32 v7, -1, v6
	v_fma_f32 v9, -v7, v6, v1
	v_cmp_ge_f32_e64 s[0:1], 0, v9
	v_add_u32_e32 v9, 1, v6
	s_nop 0
	v_cndmask_b32_e64 v7, v6, v7, s[0:1]
	v_fma_f32 v6, -v9, v6, v1
	v_cmp_lt_f32_e64 s[0:1], 0, v6
	s_nop 1
	v_cndmask_b32_e64 v6, v7, v9, s[0:1]
	v_mul_f32_e32 v7, 0x37800000, v6
	v_cndmask_b32_e32 v6, v6, v7, vcc
	v_mov_b32_e32 v7, 0x260
	v_cmp_class_f32_e32 vcc, v1, v7
	s_nop 1
	v_cndmask_b32_e32 v1, v6, v1, vcc
	v_div_scale_f32 v5, s[0:1], v1, v1, v3
	v_rcp_f32_e32 v6, v5
	s_nop 0
	v_fma_f32 v7, -v5, v6, 1.0
	v_fmac_f32_e32 v6, v7, v6
	v_div_scale_f32 v7, vcc, v3, v1, v3
	v_mul_f32_e32 v9, v7, v6
	v_fma_f32 v10, -v5, v9, v7
	v_fmac_f32_e32 v9, v10, v6
	v_fma_f32 v5, -v5, v9, v7
	v_div_fmas_f32 v5, v5, v6, v9
	v_div_fixup_f32 v6, v5, v1, v3
.LBB18_1635:
	s_or_b64 exec, exec, s[10:11]
.LBB18_1636:
	s_or_b64 exec, exec, s[6:7]
	v_mul_lo_u32 v8, s8, v8
	v_ashrrev_i32_e32 v9, 31, v8
	s_and_b32 s20, s33, 0xff
	s_cmp_lt_i32 s20, 11
	v_lshl_add_u64 v[10:11], s[4:5], 0, v[8:9]
	s_cbranch_scc1 .LBB18_1760
; %bb.1637:
	s_and_b32 s9, 0xffff, s20
	s_mov_b64 s[16:17], -1
	s_mov_b64 s[6:7], 0
	s_cmp_gt_i32 s9, 25
	s_mov_b64 s[10:11], 0
	s_mov_b64 s[0:1], 0
	s_cbranch_scc0 .LBB18_1670
; %bb.1638:
	s_cmp_gt_i32 s9, 28
	s_cbranch_scc0 .LBB18_1653
; %bb.1639:
	s_cmp_gt_i32 s9, 43
	;; [unrolled: 3-line block ×3, first 2 shown]
	s_cbranch_scc0 .LBB18_1643
; %bb.1641:
	s_mov_b64 s[0:1], -1
	s_mov_b64 s[16:17], 0
	s_cmp_eq_u32 s9, 46
	s_cbranch_scc0 .LBB18_1643
; %bb.1642:
	v_bfe_u32 v1, v0, 16, 1
	s_movk_i32 s0, 0x7fff
	v_add3_u32 v1, v0, v1, s0
	v_cmp_o_f32_e32 vcc, v0, v0
	v_mov_b32_e32 v3, 0x7fc0
	s_mov_b64 s[0:1], 0
	v_cndmask_b32_sdwa v1, v3, v1, vcc dst_sel:DWORD dst_unused:UNUSED_PAD src0_sel:DWORD src1_sel:WORD_1
	global_store_dword v[10:11], v1, off
	s_mov_b64 s[10:11], -1
.LBB18_1643:
	s_and_b64 vcc, exec, s[16:17]
	s_cbranch_vccz .LBB18_1648
; %bb.1644:
	s_cmp_eq_u32 s9, 44
	s_mov_b64 s[0:1], -1
	s_cbranch_scc0 .LBB18_1648
; %bb.1645:
	v_bfe_u32 v1, v0, 23, 8
	s_movk_i32 s0, 0xff
	v_cmp_ne_u32_e32 vcc, s0, v1
	v_mov_b32_e32 v3, 0xff
	s_and_saveexec_b64 s[10:11], vcc
; %bb.1646:
	s_mov_b32 s0, 0x3fffff
	v_and_b32_e32 v5, 0x400000, v0
	v_and_or_b32 v1, v0, s0, v1
	v_cmp_ne_u32_e32 vcc, 0, v5
	v_cmp_ne_u32_e64 s[0:1], 0, v1
	s_and_b64 s[0:1], vcc, s[0:1]
	v_lshrrev_b32_e32 v3, 23, v0
	v_cndmask_b32_e64 v1, 0, 1, s[0:1]
	v_add_u32_e32 v3, v3, v1
; %bb.1647:
	s_or_b64 exec, exec, s[10:11]
	s_mov_b64 s[0:1], 0
	s_mov_b64 s[10:11], -1
	global_store_byte v[10:11], v3, off
.LBB18_1648:
	s_mov_b64 s[16:17], 0
.LBB18_1649:
	s_and_b64 vcc, exec, s[16:17]
	s_cbranch_vccz .LBB18_1652
; %bb.1650:
	s_cmp_eq_u32 s9, 29
	s_mov_b64 s[0:1], -1
	s_cbranch_scc0 .LBB18_1652
; %bb.1651:
	v_trunc_f32_e32 v1, v0
	v_mul_f32_e32 v3, 0x2f800000, v1
	v_floor_f32_e32 v3, v3
	v_fmamk_f32 v1, v3, 0xcf800000, v1
	v_cvt_u32_f32_e32 v13, v3
	v_cvt_u32_f32_e32 v12, v1
	s_mov_b64 s[0:1], 0
	s_mov_b64 s[10:11], -1
	global_store_dwordx2 v[10:11], v[12:13], off
.LBB18_1652:
	s_mov_b64 s[16:17], 0
.LBB18_1653:
	s_and_b64 vcc, exec, s[16:17]
	s_cbranch_vccz .LBB18_1669
; %bb.1654:
	s_cmp_lt_i32 s9, 27
	s_mov_b64 s[10:11], -1
	s_cbranch_scc1 .LBB18_1660
; %bb.1655:
	v_cvt_u32_f32_e32 v1, v0
	s_cmp_gt_i32 s9, 27
	s_cbranch_scc0 .LBB18_1657
; %bb.1656:
	s_mov_b64 s[10:11], 0
	global_store_dword v[10:11], v1, off
.LBB18_1657:
	s_andn2_b64 vcc, exec, s[10:11]
	s_cbranch_vccnz .LBB18_1659
; %bb.1658:
	global_store_short v[10:11], v1, off
.LBB18_1659:
	s_mov_b64 s[10:11], 0
.LBB18_1660:
	s_andn2_b64 vcc, exec, s[10:11]
	s_cbranch_vccnz .LBB18_1668
; %bb.1661:
	v_and_b32_e32 v1, 0x7fffffff, v0
	s_mov_b32 s10, 0x43800000
	v_cmp_gt_u32_e32 vcc, s10, v1
	v_mov_b32_e32 v3, 0x80
	s_and_saveexec_b64 s[10:11], vcc
	s_cbranch_execz .LBB18_1667
; %bb.1662:
	s_mov_b32 s16, 0x3bffffff
	v_cmp_lt_u32_e32 vcc, s16, v1
	s_mov_b64 s[16:17], 0
                                        ; implicit-def: $vgpr1
	s_and_saveexec_b64 s[18:19], vcc
	s_xor_b64 s[18:19], exec, s[18:19]
	s_cbranch_execz .LBB18_2118
; %bb.1663:
	v_bfe_u32 v1, v0, 20, 1
	s_mov_b32 s21, 0x487ffff
	v_add3_u32 v1, v0, v1, s21
	s_mov_b64 s[16:17], exec
	v_lshrrev_b32_e32 v1, 20, v1
	s_andn2_saveexec_b64 s[18:19], s[18:19]
	s_cbranch_execnz .LBB18_2119
.LBB18_1664:
	s_or_b64 exec, exec, s[18:19]
	v_mov_b32_e32 v3, 0
	s_and_saveexec_b64 s[18:19], s[16:17]
.LBB18_1665:
	v_lshrrev_b32_e32 v3, 24, v0
	s_movk_i32 s16, 0x80
	v_and_or_b32 v3, v3, s16, v1
.LBB18_1666:
	s_or_b64 exec, exec, s[18:19]
.LBB18_1667:
	s_or_b64 exec, exec, s[10:11]
	global_store_byte v[10:11], v3, off
.LBB18_1668:
	s_mov_b64 s[10:11], -1
.LBB18_1669:
	s_mov_b64 s[16:17], 0
.LBB18_1670:
	s_and_b64 vcc, exec, s[16:17]
	s_cbranch_vccz .LBB18_1710
; %bb.1671:
	s_cmp_gt_i32 s9, 22
	s_mov_b64 s[6:7], -1
	s_cbranch_scc0 .LBB18_1703
; %bb.1672:
	s_cmp_lt_i32 s9, 24
	s_cbranch_scc1 .LBB18_1692
; %bb.1673:
	s_cmp_gt_i32 s9, 24
	s_cbranch_scc0 .LBB18_1681
; %bb.1674:
	v_and_b32_e32 v1, 0x7fffffff, v0
	s_mov_b32 s6, 0x47800000
	v_cmp_gt_u32_e32 vcc, s6, v1
	v_mov_b32_e32 v3, 0x80
	s_and_saveexec_b64 s[6:7], vcc
	s_cbranch_execz .LBB18_1680
; %bb.1675:
	s_mov_b32 s10, 0x37ffffff
	v_cmp_lt_u32_e32 vcc, s10, v1
	s_mov_b64 s[10:11], 0
                                        ; implicit-def: $vgpr1
	s_and_saveexec_b64 s[16:17], vcc
	s_xor_b64 s[16:17], exec, s[16:17]
	s_cbranch_execz .LBB18_2121
; %bb.1676:
	v_bfe_u32 v1, v0, 21, 1
	s_mov_b32 s18, 0x88fffff
	v_add3_u32 v1, v0, v1, s18
	s_mov_b64 s[10:11], exec
	v_lshrrev_b32_e32 v1, 21, v1
	s_andn2_saveexec_b64 s[16:17], s[16:17]
	s_cbranch_execnz .LBB18_2122
.LBB18_1677:
	s_or_b64 exec, exec, s[16:17]
	v_mov_b32_e32 v3, 0
	s_and_saveexec_b64 s[16:17], s[10:11]
.LBB18_1678:
	v_lshrrev_b32_e32 v3, 24, v0
	s_movk_i32 s10, 0x80
	v_and_or_b32 v3, v3, s10, v1
.LBB18_1679:
	s_or_b64 exec, exec, s[16:17]
.LBB18_1680:
	s_or_b64 exec, exec, s[6:7]
	s_mov_b64 s[6:7], 0
	global_store_byte v[10:11], v3, off
.LBB18_1681:
	s_and_b64 vcc, exec, s[6:7]
	s_cbranch_vccz .LBB18_1691
; %bb.1682:
	v_and_b32_e32 v3, 0x7fffffff, v0
	s_mov_b32 s6, 0x43f00000
	v_cmp_gt_u32_e32 vcc, s6, v3
                                        ; implicit-def: $vgpr1
	s_and_saveexec_b64 s[6:7], vcc
	s_xor_b64 s[6:7], exec, s[6:7]
	s_cbranch_execz .LBB18_1688
; %bb.1683:
	s_mov_b32 s10, 0x3c7fffff
	v_cmp_lt_u32_e32 vcc, s10, v3
                                        ; implicit-def: $vgpr1
	s_and_saveexec_b64 s[10:11], vcc
	s_xor_b64 s[10:11], exec, s[10:11]
; %bb.1684:
	v_bfe_u32 v1, v0, 20, 1
	s_mov_b32 s16, 0x407ffff
	v_add3_u32 v1, v0, v1, s16
	v_lshrrev_b32_e32 v3, 20, v1
	v_and_b32_e32 v1, 0xff00000, v1
	s_mov_b32 s16, 0x7f00000
	v_mov_b32_e32 v5, 0x7e
	v_cmp_ne_u32_e32 vcc, s16, v1
	s_nop 1
	v_cndmask_b32_e32 v1, v5, v3, vcc
; %bb.1685:
	s_andn2_saveexec_b64 s[10:11], s[10:11]
; %bb.1686:
	s_mov_b32 s16, 0x46800000
	v_add_f32_e64 v1, |v0|, s16
; %bb.1687:
	s_or_b64 exec, exec, s[10:11]
                                        ; implicit-def: $vgpr3
.LBB18_1688:
	s_andn2_saveexec_b64 s[6:7], s[6:7]
; %bb.1689:
	s_mov_b32 s10, 0x7f800000
	v_mov_b32_e32 v1, 0x7e
	v_mov_b32_e32 v5, 0x7f
	v_cmp_lt_u32_e32 vcc, s10, v3
	s_nop 1
	v_cndmask_b32_e32 v1, v1, v5, vcc
; %bb.1690:
	s_or_b64 exec, exec, s[6:7]
	v_lshrrev_b32_e32 v3, 24, v0
	s_movk_i32 s6, 0x80
	v_and_or_b32 v1, v3, s6, v1
	global_store_byte v[10:11], v1, off
.LBB18_1691:
	s_mov_b64 s[6:7], 0
.LBB18_1692:
	s_andn2_b64 vcc, exec, s[6:7]
	s_cbranch_vccnz .LBB18_1702
; %bb.1693:
	v_and_b32_e32 v3, 0x7fffffff, v0
	s_mov_b32 s6, 0x47800000
	v_cmp_gt_u32_e32 vcc, s6, v3
                                        ; implicit-def: $vgpr1
	s_and_saveexec_b64 s[6:7], vcc
	s_xor_b64 s[6:7], exec, s[6:7]
	s_cbranch_execz .LBB18_1699
; %bb.1694:
	s_mov_b32 s10, 0x387fffff
	v_cmp_lt_u32_e32 vcc, s10, v3
                                        ; implicit-def: $vgpr1
	s_and_saveexec_b64 s[10:11], vcc
	s_xor_b64 s[10:11], exec, s[10:11]
; %bb.1695:
	v_bfe_u32 v1, v0, 21, 1
	s_mov_b32 s16, 0x80fffff
	v_add3_u32 v1, v0, v1, s16
	v_lshrrev_b32_e32 v1, 21, v1
; %bb.1696:
	s_andn2_saveexec_b64 s[10:11], s[10:11]
; %bb.1697:
	s_mov_b32 s16, 0x43000000
	v_add_f32_e64 v1, |v0|, s16
; %bb.1698:
	s_or_b64 exec, exec, s[10:11]
                                        ; implicit-def: $vgpr3
.LBB18_1699:
	s_andn2_saveexec_b64 s[6:7], s[6:7]
; %bb.1700:
	s_mov_b32 s10, 0x7f800000
	v_mov_b32_e32 v1, 0x7c
	v_mov_b32_e32 v5, 0x7f
	v_cmp_lt_u32_e32 vcc, s10, v3
	s_nop 1
	v_cndmask_b32_e32 v1, v1, v5, vcc
; %bb.1701:
	s_or_b64 exec, exec, s[6:7]
	v_lshrrev_b32_e32 v3, 24, v0
	s_movk_i32 s6, 0x80
	v_and_or_b32 v1, v3, s6, v1
	global_store_byte v[10:11], v1, off
.LBB18_1702:
	s_mov_b64 s[6:7], 0
	s_mov_b64 s[10:11], -1
.LBB18_1703:
	s_andn2_b64 vcc, exec, s[6:7]
	s_mov_b64 s[6:7], 0
	s_cbranch_vccnz .LBB18_1710
; %bb.1704:
	s_cmp_gt_i32 s9, 14
	s_mov_b64 s[16:17], -1
	s_cbranch_scc0 .LBB18_1708
; %bb.1705:
	s_cmp_eq_u32 s9, 15
	s_mov_b64 s[0:1], -1
	s_cbranch_scc0 .LBB18_1707
; %bb.1706:
	v_bfe_u32 v1, v0, 16, 1
	s_movk_i32 s0, 0x7fff
	v_add3_u32 v1, v0, v1, s0
	v_cmp_o_f32_e32 vcc, v0, v0
	v_mov_b32_e32 v3, 0x7fc0
	s_mov_b64 s[0:1], 0
	v_cndmask_b32_sdwa v1, v3, v1, vcc dst_sel:DWORD dst_unused:UNUSED_PAD src0_sel:DWORD src1_sel:WORD_1
	global_store_short v[10:11], v1, off
	s_mov_b64 s[10:11], -1
.LBB18_1707:
	s_mov_b64 s[16:17], 0
.LBB18_1708:
	s_and_b64 vcc, exec, s[16:17]
	s_cbranch_vccz .LBB18_1710
; %bb.1709:
	s_cmp_lg_u32 s9, 11
	s_mov_b64 s[6:7], -1
	s_cselect_b64 s[0:1], -1, 0
.LBB18_1710:
	s_and_b64 vcc, exec, s[0:1]
	s_cbranch_vccnz .LBB18_2120
; %bb.1711:
	s_andn2_b64 vcc, exec, s[6:7]
	s_cbranch_vccnz .LBB18_1713
.LBB18_1712:
	v_cmp_neq_f32_e32 vcc, 0, v0
	s_mov_b64 s[10:11], -1
	s_nop 0
	v_cndmask_b32_e64 v1, 0, 1, vcc
	global_store_byte v[10:11], v1, off
.LBB18_1713:
	s_mov_b64 s[0:1], 0
	s_branch .LBB18_1761
.LBB18_1714:
	s_mov_b64 s[0:1], 0
                                        ; implicit-def: $sgpr20
                                        ; implicit-def: $vgpr0_vgpr1
                                        ; implicit-def: $vgpr6
.LBB18_1715:
	s_mov_b64 s[4:5], 0
.LBB18_1716:
	s_and_b64 s[10:11], s[4:5], exec
	s_andn2_b64 s[4:5], s[12:13], exec
	s_and_b64 s[6:7], s[14:15], exec
	s_and_b64 s[0:1], s[0:1], exec
	s_or_b64 s[12:13], s[4:5], s[6:7]
.LBB18_1717:
	s_or_b64 exec, exec, s[2:3]
	s_and_saveexec_b64 s[2:3], s[12:13]
	s_cbranch_execz .LBB18_1720
; %bb.1718:
	; divergent unreachable
	s_or_b64 exec, exec, s[2:3]
	s_and_saveexec_b64 s[2:3], s[10:11]
	s_xor_b64 s[2:3], exec, s[2:3]
	s_cbranch_execnz .LBB18_1721
.LBB18_1719:
	s_or_b64 exec, exec, s[2:3]
	s_and_saveexec_b64 s[2:3], s[0:1]
	s_cbranch_execnz .LBB18_1722
	s_branch .LBB18_1759
.LBB18_1720:
	s_or_b64 exec, exec, s[2:3]
	s_and_saveexec_b64 s[2:3], s[10:11]
	s_xor_b64 s[2:3], exec, s[2:3]
	s_cbranch_execz .LBB18_1719
.LBB18_1721:
	v_cmp_neq_f32_e32 vcc, 0, v6
	s_waitcnt vmcnt(0)
	s_nop 0
	v_cndmask_b32_e64 v2, 0, 1, vcc
	global_store_byte v[0:1], v2, off
	s_or_b64 exec, exec, s[2:3]
	s_and_saveexec_b64 s[2:3], s[0:1]
	s_cbranch_execz .LBB18_1759
.LBB18_1722:
	s_sext_i32_i16 s2, s20
	s_cmp_lt_i32 s2, 5
	s_mov_b64 s[0:1], -1
	s_cbranch_scc1 .LBB18_1743
; %bb.1723:
	s_cmp_lt_i32 s2, 8
	s_cbranch_scc1 .LBB18_1733
; %bb.1724:
	s_cmp_lt_i32 s2, 9
	s_cbranch_scc1 .LBB18_1730
; %bb.1725:
	s_cmp_gt_i32 s2, 9
	s_cbranch_scc0 .LBB18_1727
; %bb.1726:
	s_waitcnt vmcnt(0)
	v_mov_b32_e32 v4, 0
	v_cvt_f64_f32_e32 v[2:3], v6
	v_mov_b32_e32 v5, v4
	global_store_dwordx4 v[0:1], v[2:5], off
	s_mov_b64 s[0:1], 0
.LBB18_1727:
	s_andn2_b64 vcc, exec, s[0:1]
	s_cbranch_vccnz .LBB18_1729
; %bb.1728:
	v_mov_b32_e32 v7, 0
	s_waitcnt vmcnt(0)
	global_store_dwordx2 v[0:1], v[6:7], off
.LBB18_1729:
	s_mov_b64 s[0:1], 0
.LBB18_1730:
	s_andn2_b64 vcc, exec, s[0:1]
	s_cbranch_vccnz .LBB18_1732
; %bb.1731:
	s_waitcnt vmcnt(0)
	v_cvt_f16_f32_e32 v2, v6
	global_store_dword v[0:1], v2, off
.LBB18_1732:
	s_mov_b64 s[0:1], 0
.LBB18_1733:
	s_andn2_b64 vcc, exec, s[0:1]
	s_cbranch_vccnz .LBB18_1742
; %bb.1734:
	s_sext_i32_i16 s2, s20
	s_cmp_lt_i32 s2, 6
	s_mov_b64 s[0:1], -1
	s_cbranch_scc1 .LBB18_1740
; %bb.1735:
	s_cmp_gt_i32 s2, 6
	s_cbranch_scc0 .LBB18_1737
; %bb.1736:
	s_waitcnt vmcnt(0)
	v_cvt_f64_f32_e32 v[2:3], v6
	global_store_dwordx2 v[0:1], v[2:3], off
	s_mov_b64 s[0:1], 0
.LBB18_1737:
	s_andn2_b64 vcc, exec, s[0:1]
	s_cbranch_vccnz .LBB18_1739
; %bb.1738:
	s_waitcnt vmcnt(0)
	global_store_dword v[0:1], v6, off
.LBB18_1739:
	s_mov_b64 s[0:1], 0
.LBB18_1740:
	s_andn2_b64 vcc, exec, s[0:1]
	s_cbranch_vccnz .LBB18_1742
; %bb.1741:
	s_waitcnt vmcnt(0)
	v_cvt_f16_f32_e32 v2, v6
	global_store_short v[0:1], v2, off
.LBB18_1742:
	s_mov_b64 s[0:1], 0
.LBB18_1743:
	s_andn2_b64 vcc, exec, s[0:1]
	s_cbranch_vccnz .LBB18_1759
; %bb.1744:
	s_sext_i32_i16 s2, s20
	s_cmp_lt_i32 s2, 2
	s_mov_b64 s[0:1], -1
	s_cbranch_scc1 .LBB18_1754
; %bb.1745:
	s_cmp_lt_i32 s2, 3
	s_cbranch_scc1 .LBB18_1751
; %bb.1746:
	s_cmp_gt_i32 s2, 3
	s_cbranch_scc0 .LBB18_1748
; %bb.1747:
	s_waitcnt vmcnt(0)
	v_trunc_f32_e32 v2, v6
	s_mov_b32 s0, 0x2f800000
	v_mul_f32_e64 v3, |v2|, s0
	v_floor_f32_e32 v3, v3
	s_mov_b32 s0, 0xcf800000
	v_cvt_u32_f32_e32 v4, v3
	v_fma_f32 v3, v3, s0, |v2|
	v_cvt_u32_f32_e32 v3, v3
	v_ashrrev_i32_e32 v5, 31, v2
	v_xor_b32_e32 v4, v4, v5
	s_mov_b64 s[0:1], 0
	v_xor_b32_e32 v2, v3, v5
	v_sub_co_u32_e32 v2, vcc, v2, v5
	s_nop 1
	v_subb_co_u32_e32 v3, vcc, v4, v5, vcc
	global_store_dwordx2 v[0:1], v[2:3], off
.LBB18_1748:
	s_andn2_b64 vcc, exec, s[0:1]
	s_cbranch_vccnz .LBB18_1750
; %bb.1749:
	s_waitcnt vmcnt(0)
	v_cvt_i32_f32_e32 v2, v6
	global_store_dword v[0:1], v2, off
.LBB18_1750:
	s_mov_b64 s[0:1], 0
.LBB18_1751:
	s_andn2_b64 vcc, exec, s[0:1]
	s_cbranch_vccnz .LBB18_1753
; %bb.1752:
	s_waitcnt vmcnt(0)
	v_cvt_i32_f32_e32 v2, v6
	global_store_short v[0:1], v2, off
.LBB18_1753:
	s_mov_b64 s[0:1], 0
.LBB18_1754:
	s_andn2_b64 vcc, exec, s[0:1]
	s_cbranch_vccnz .LBB18_1759
; %bb.1755:
	s_sext_i32_i16 s0, s20
	s_cmp_gt_i32 s0, 0
	s_mov_b64 s[0:1], -1
	s_cbranch_scc0 .LBB18_1757
; %bb.1756:
	s_waitcnt vmcnt(0)
	v_cvt_i32_f32_e32 v2, v6
	s_mov_b64 s[0:1], 0
	global_store_byte v[0:1], v2, off
.LBB18_1757:
	s_andn2_b64 vcc, exec, s[0:1]
	s_cbranch_vccnz .LBB18_1759
; %bb.1758:
	s_waitcnt vmcnt(0)
	v_trunc_f32_e32 v2, v6
	s_mov_b32 s0, 0x2f800000
	v_mul_f32_e64 v3, |v2|, s0
	v_floor_f32_e32 v3, v3
	s_mov_b32 s0, 0xcf800000
	v_fma_f32 v3, v3, s0, |v2|
	v_cvt_u32_f32_e32 v3, v3
	v_ashrrev_i32_e32 v2, 31, v2
	v_xor_b32_e32 v3, v3, v2
	v_sub_u32_e32 v2, v3, v2
	global_store_byte v[0:1], v2, off
	s_endpgm
.LBB18_1759:
	s_endpgm
.LBB18_1760:
	s_mov_b64 s[0:1], -1
	s_mov_b64 s[10:11], 0
.LBB18_1761:
	s_and_b64 vcc, exec, s[0:1]
	s_cbranch_vccz .LBB18_1800
; %bb.1762:
	s_and_b32 s6, 0xffff, s20
	s_cmp_lt_i32 s6, 5
	s_mov_b64 s[0:1], -1
	s_cbranch_scc1 .LBB18_1783
; %bb.1763:
	s_cmp_lt_i32 s6, 8
	s_cbranch_scc1 .LBB18_1773
; %bb.1764:
	s_cmp_lt_i32 s6, 9
	s_cbranch_scc1 .LBB18_1770
; %bb.1765:
	s_cmp_gt_i32 s6, 9
	s_cbranch_scc0 .LBB18_1767
; %bb.1766:
	v_mov_b32_e32 v14, 0
	v_cvt_f64_f32_e32 v[12:13], v0
	v_mov_b32_e32 v15, v14
	global_store_dwordx4 v[10:11], v[12:15], off
	s_mov_b64 s[0:1], 0
.LBB18_1767:
	s_andn2_b64 vcc, exec, s[0:1]
	s_cbranch_vccnz .LBB18_1769
; %bb.1768:
	v_mov_b32_e32 v1, 0
	global_store_dwordx2 v[10:11], v[0:1], off
.LBB18_1769:
	s_mov_b64 s[0:1], 0
.LBB18_1770:
	s_andn2_b64 vcc, exec, s[0:1]
	s_cbranch_vccnz .LBB18_1772
; %bb.1771:
	v_cvt_f16_f32_e32 v1, v0
	global_store_dword v[10:11], v1, off
.LBB18_1772:
	s_mov_b64 s[0:1], 0
.LBB18_1773:
	s_andn2_b64 vcc, exec, s[0:1]
	s_cbranch_vccnz .LBB18_1782
; %bb.1774:
	s_cmp_lt_i32 s6, 6
	s_mov_b64 s[0:1], -1
	s_cbranch_scc1 .LBB18_1780
; %bb.1775:
	s_cmp_gt_i32 s6, 6
	s_cbranch_scc0 .LBB18_1777
; %bb.1776:
	v_cvt_f64_f32_e32 v[12:13], v0
	global_store_dwordx2 v[10:11], v[12:13], off
	s_mov_b64 s[0:1], 0
.LBB18_1777:
	s_andn2_b64 vcc, exec, s[0:1]
	s_cbranch_vccnz .LBB18_1779
; %bb.1778:
	global_store_dword v[10:11], v0, off
.LBB18_1779:
	s_mov_b64 s[0:1], 0
.LBB18_1780:
	s_andn2_b64 vcc, exec, s[0:1]
	s_cbranch_vccnz .LBB18_1782
; %bb.1781:
	v_cvt_f16_f32_e32 v1, v0
	global_store_short v[10:11], v1, off
.LBB18_1782:
	s_mov_b64 s[0:1], 0
.LBB18_1783:
	s_andn2_b64 vcc, exec, s[0:1]
	s_cbranch_vccnz .LBB18_1799
; %bb.1784:
	s_cmp_lt_i32 s6, 2
	s_mov_b64 s[0:1], -1
	s_cbranch_scc1 .LBB18_1794
; %bb.1785:
	s_cmp_lt_i32 s6, 3
	s_cbranch_scc1 .LBB18_1791
; %bb.1786:
	s_cmp_gt_i32 s6, 3
	s_cbranch_scc0 .LBB18_1788
; %bb.1787:
	v_trunc_f32_e32 v1, v0
	s_mov_b32 s0, 0x2f800000
	v_mul_f32_e64 v3, |v1|, s0
	v_floor_f32_e32 v3, v3
	s_mov_b32 s0, 0xcf800000
	v_cvt_u32_f32_e32 v5, v3
	v_fma_f32 v3, v3, s0, |v1|
	v_cvt_u32_f32_e32 v3, v3
	v_ashrrev_i32_e32 v1, 31, v1
	v_xor_b32_e32 v5, v5, v1
	s_mov_b64 s[0:1], 0
	v_xor_b32_e32 v3, v3, v1
	v_sub_co_u32_e32 v12, vcc, v3, v1
	s_nop 1
	v_subb_co_u32_e32 v13, vcc, v5, v1, vcc
	global_store_dwordx2 v[10:11], v[12:13], off
.LBB18_1788:
	s_andn2_b64 vcc, exec, s[0:1]
	s_cbranch_vccnz .LBB18_1790
; %bb.1789:
	v_cvt_i32_f32_e32 v1, v0
	global_store_dword v[10:11], v1, off
.LBB18_1790:
	s_mov_b64 s[0:1], 0
.LBB18_1791:
	s_andn2_b64 vcc, exec, s[0:1]
	s_cbranch_vccnz .LBB18_1793
; %bb.1792:
	v_cvt_i32_f32_e32 v1, v0
	global_store_short v[10:11], v1, off
.LBB18_1793:
	s_mov_b64 s[0:1], 0
.LBB18_1794:
	s_andn2_b64 vcc, exec, s[0:1]
	s_cbranch_vccnz .LBB18_1799
; %bb.1795:
	s_cmp_gt_i32 s6, 0
	s_mov_b64 s[0:1], -1
	s_cbranch_scc0 .LBB18_1797
; %bb.1796:
	v_cvt_i32_f32_e32 v1, v0
	s_mov_b64 s[0:1], 0
	global_store_byte v[10:11], v1, off
.LBB18_1797:
	s_andn2_b64 vcc, exec, s[0:1]
	s_cbranch_vccnz .LBB18_1799
; %bb.1798:
	v_trunc_f32_e32 v0, v0
	s_mov_b32 s0, 0x2f800000
	v_mul_f32_e64 v1, |v0|, s0
	v_floor_f32_e32 v1, v1
	s_mov_b32 s0, 0xcf800000
	v_fma_f32 v1, v1, s0, |v0|
	v_cvt_u32_f32_e32 v1, v1
	v_ashrrev_i32_e32 v0, 31, v0
	v_xor_b32_e32 v1, v1, v0
	v_sub_u32_e32 v0, v1, v0
	global_store_byte v[10:11], v0, off
.LBB18_1799:
	s_mov_b64 s[10:11], -1
.LBB18_1800:
	s_andn2_b64 vcc, exec, s[10:11]
	s_cbranch_vccnz .LBB18_2115
; %bb.1801:
	s_lshl_b32 s18, s8, 7
	v_add_u32_e32 v0, s18, v8
	v_ashrrev_i32_e32 v1, 31, v0
	s_cmp_lt_i32 s20, 11
	v_lshl_add_u64 v[8:9], s[4:5], 0, v[0:1]
	s_cbranch_scc1 .LBB18_1879
; %bb.1802:
	s_and_b32 s19, 0xffff, s20
	s_mov_b64 s[10:11], -1
	s_mov_b64 s[6:7], 0
	s_cmp_gt_i32 s19, 25
	s_mov_b64 s[8:9], 0
	s_mov_b64 s[0:1], 0
	s_cbranch_scc0 .LBB18_1835
; %bb.1803:
	s_cmp_gt_i32 s19, 28
	s_cbranch_scc0 .LBB18_1818
; %bb.1804:
	s_cmp_gt_i32 s19, 43
	;; [unrolled: 3-line block ×3, first 2 shown]
	s_cbranch_scc0 .LBB18_1808
; %bb.1806:
	s_mov_b64 s[0:1], -1
	s_mov_b64 s[10:11], 0
	s_cmp_eq_u32 s19, 46
	s_cbranch_scc0 .LBB18_1808
; %bb.1807:
	v_bfe_u32 v1, v2, 16, 1
	s_movk_i32 s0, 0x7fff
	v_add3_u32 v1, v2, v1, s0
	v_cmp_o_f32_e32 vcc, v2, v2
	v_mov_b32_e32 v3, 0x7fc0
	s_mov_b64 s[0:1], 0
	v_cndmask_b32_sdwa v1, v3, v1, vcc dst_sel:DWORD dst_unused:UNUSED_PAD src0_sel:DWORD src1_sel:WORD_1
	global_store_dword v[8:9], v1, off
	s_mov_b64 s[8:9], -1
.LBB18_1808:
	s_and_b64 vcc, exec, s[10:11]
	s_cbranch_vccz .LBB18_1813
; %bb.1809:
	s_cmp_eq_u32 s19, 44
	s_mov_b64 s[0:1], -1
	s_cbranch_scc0 .LBB18_1813
; %bb.1810:
	v_bfe_u32 v1, v2, 23, 8
	s_movk_i32 s0, 0xff
	v_cmp_ne_u32_e32 vcc, s0, v1
	v_mov_b32_e32 v3, 0xff
	s_and_saveexec_b64 s[8:9], vcc
; %bb.1811:
	s_mov_b32 s0, 0x3fffff
	v_and_b32_e32 v5, 0x400000, v2
	v_and_or_b32 v1, v2, s0, v1
	v_cmp_ne_u32_e32 vcc, 0, v5
	v_cmp_ne_u32_e64 s[0:1], 0, v1
	s_and_b64 s[0:1], vcc, s[0:1]
	v_lshrrev_b32_e32 v3, 23, v2
	v_cndmask_b32_e64 v1, 0, 1, s[0:1]
	v_add_u32_e32 v3, v3, v1
; %bb.1812:
	s_or_b64 exec, exec, s[8:9]
	s_mov_b64 s[0:1], 0
	s_mov_b64 s[8:9], -1
	global_store_byte v[8:9], v3, off
.LBB18_1813:
	s_mov_b64 s[10:11], 0
.LBB18_1814:
	s_and_b64 vcc, exec, s[10:11]
	s_cbranch_vccz .LBB18_1817
; %bb.1815:
	s_cmp_eq_u32 s19, 29
	s_mov_b64 s[0:1], -1
	s_cbranch_scc0 .LBB18_1817
; %bb.1816:
	v_trunc_f32_e32 v1, v2
	v_mul_f32_e32 v3, 0x2f800000, v1
	v_floor_f32_e32 v3, v3
	v_fmamk_f32 v1, v3, 0xcf800000, v1
	v_cvt_u32_f32_e32 v11, v3
	v_cvt_u32_f32_e32 v10, v1
	s_mov_b64 s[0:1], 0
	s_mov_b64 s[8:9], -1
	global_store_dwordx2 v[8:9], v[10:11], off
.LBB18_1817:
	s_mov_b64 s[10:11], 0
.LBB18_1818:
	s_and_b64 vcc, exec, s[10:11]
	s_cbranch_vccz .LBB18_1834
; %bb.1819:
	s_cmp_lt_i32 s19, 27
	s_mov_b64 s[8:9], -1
	s_cbranch_scc1 .LBB18_1825
; %bb.1820:
	v_cvt_u32_f32_e32 v1, v2
	s_cmp_gt_i32 s19, 27
	s_cbranch_scc0 .LBB18_1822
; %bb.1821:
	s_mov_b64 s[8:9], 0
	global_store_dword v[8:9], v1, off
.LBB18_1822:
	s_andn2_b64 vcc, exec, s[8:9]
	s_cbranch_vccnz .LBB18_1824
; %bb.1823:
	global_store_short v[8:9], v1, off
.LBB18_1824:
	s_mov_b64 s[8:9], 0
.LBB18_1825:
	s_andn2_b64 vcc, exec, s[8:9]
	s_cbranch_vccnz .LBB18_1833
; %bb.1826:
	v_and_b32_e32 v1, 0x7fffffff, v2
	s_mov_b32 s8, 0x43800000
	v_cmp_gt_u32_e32 vcc, s8, v1
	v_mov_b32_e32 v3, 0x80
	s_and_saveexec_b64 s[8:9], vcc
	s_cbranch_execz .LBB18_1832
; %bb.1827:
	s_mov_b32 s10, 0x3bffffff
	v_cmp_lt_u32_e32 vcc, s10, v1
	s_mov_b64 s[10:11], 0
                                        ; implicit-def: $vgpr1
	s_and_saveexec_b64 s[16:17], vcc
	s_xor_b64 s[16:17], exec, s[16:17]
	s_cbranch_execz .LBB18_2123
; %bb.1828:
	v_bfe_u32 v1, v2, 20, 1
	s_mov_b32 s21, 0x487ffff
	v_add3_u32 v1, v2, v1, s21
	s_mov_b64 s[10:11], exec
	v_lshrrev_b32_e32 v1, 20, v1
	s_andn2_saveexec_b64 s[16:17], s[16:17]
	s_cbranch_execnz .LBB18_2124
.LBB18_1829:
	s_or_b64 exec, exec, s[16:17]
	v_mov_b32_e32 v3, 0
	s_and_saveexec_b64 s[16:17], s[10:11]
.LBB18_1830:
	v_lshrrev_b32_e32 v3, 24, v2
	s_movk_i32 s10, 0x80
	v_and_or_b32 v3, v3, s10, v1
.LBB18_1831:
	s_or_b64 exec, exec, s[16:17]
.LBB18_1832:
	s_or_b64 exec, exec, s[8:9]
	global_store_byte v[8:9], v3, off
.LBB18_1833:
	s_mov_b64 s[8:9], -1
.LBB18_1834:
	s_mov_b64 s[10:11], 0
.LBB18_1835:
	s_and_b64 vcc, exec, s[10:11]
	s_cbranch_vccz .LBB18_1875
; %bb.1836:
	s_cmp_gt_i32 s19, 22
	s_mov_b64 s[6:7], -1
	s_cbranch_scc0 .LBB18_1868
; %bb.1837:
	s_cmp_lt_i32 s19, 24
	s_cbranch_scc1 .LBB18_1857
; %bb.1838:
	s_cmp_gt_i32 s19, 24
	s_cbranch_scc0 .LBB18_1846
; %bb.1839:
	v_and_b32_e32 v1, 0x7fffffff, v2
	s_mov_b32 s6, 0x47800000
	v_cmp_gt_u32_e32 vcc, s6, v1
	v_mov_b32_e32 v3, 0x80
	s_and_saveexec_b64 s[6:7], vcc
	s_cbranch_execz .LBB18_1845
; %bb.1840:
	s_mov_b32 s8, 0x37ffffff
	v_cmp_lt_u32_e32 vcc, s8, v1
	s_mov_b64 s[8:9], 0
                                        ; implicit-def: $vgpr1
	s_and_saveexec_b64 s[10:11], vcc
	s_xor_b64 s[10:11], exec, s[10:11]
	s_cbranch_execz .LBB18_2126
; %bb.1841:
	v_bfe_u32 v1, v2, 21, 1
	s_mov_b32 s16, 0x88fffff
	v_add3_u32 v1, v2, v1, s16
	s_mov_b64 s[8:9], exec
	v_lshrrev_b32_e32 v1, 21, v1
	s_andn2_saveexec_b64 s[10:11], s[10:11]
	s_cbranch_execnz .LBB18_2127
.LBB18_1842:
	s_or_b64 exec, exec, s[10:11]
	v_mov_b32_e32 v3, 0
	s_and_saveexec_b64 s[10:11], s[8:9]
.LBB18_1843:
	v_lshrrev_b32_e32 v3, 24, v2
	s_movk_i32 s8, 0x80
	v_and_or_b32 v3, v3, s8, v1
.LBB18_1844:
	s_or_b64 exec, exec, s[10:11]
.LBB18_1845:
	s_or_b64 exec, exec, s[6:7]
	s_mov_b64 s[6:7], 0
	global_store_byte v[8:9], v3, off
.LBB18_1846:
	s_and_b64 vcc, exec, s[6:7]
	s_cbranch_vccz .LBB18_1856
; %bb.1847:
	v_and_b32_e32 v3, 0x7fffffff, v2
	s_mov_b32 s6, 0x43f00000
	v_cmp_gt_u32_e32 vcc, s6, v3
                                        ; implicit-def: $vgpr1
	s_and_saveexec_b64 s[6:7], vcc
	s_xor_b64 s[6:7], exec, s[6:7]
	s_cbranch_execz .LBB18_1853
; %bb.1848:
	s_mov_b32 s8, 0x3c7fffff
	v_cmp_lt_u32_e32 vcc, s8, v3
                                        ; implicit-def: $vgpr1
	s_and_saveexec_b64 s[8:9], vcc
	s_xor_b64 s[8:9], exec, s[8:9]
; %bb.1849:
	v_bfe_u32 v1, v2, 20, 1
	s_mov_b32 s10, 0x407ffff
	v_add3_u32 v1, v2, v1, s10
	v_lshrrev_b32_e32 v3, 20, v1
	v_and_b32_e32 v1, 0xff00000, v1
	s_mov_b32 s10, 0x7f00000
	v_mov_b32_e32 v5, 0x7e
	v_cmp_ne_u32_e32 vcc, s10, v1
	s_nop 1
	v_cndmask_b32_e32 v1, v5, v3, vcc
; %bb.1850:
	s_andn2_saveexec_b64 s[8:9], s[8:9]
; %bb.1851:
	s_mov_b32 s10, 0x46800000
	v_add_f32_e64 v1, |v2|, s10
; %bb.1852:
	s_or_b64 exec, exec, s[8:9]
                                        ; implicit-def: $vgpr3
.LBB18_1853:
	s_andn2_saveexec_b64 s[6:7], s[6:7]
; %bb.1854:
	s_mov_b32 s8, 0x7f800000
	v_mov_b32_e32 v1, 0x7e
	v_mov_b32_e32 v5, 0x7f
	v_cmp_lt_u32_e32 vcc, s8, v3
	s_nop 1
	v_cndmask_b32_e32 v1, v1, v5, vcc
; %bb.1855:
	s_or_b64 exec, exec, s[6:7]
	v_lshrrev_b32_e32 v3, 24, v2
	s_movk_i32 s6, 0x80
	v_and_or_b32 v1, v3, s6, v1
	global_store_byte v[8:9], v1, off
.LBB18_1856:
	s_mov_b64 s[6:7], 0
.LBB18_1857:
	s_andn2_b64 vcc, exec, s[6:7]
	s_cbranch_vccnz .LBB18_1867
; %bb.1858:
	v_and_b32_e32 v3, 0x7fffffff, v2
	s_mov_b32 s6, 0x47800000
	v_cmp_gt_u32_e32 vcc, s6, v3
                                        ; implicit-def: $vgpr1
	s_and_saveexec_b64 s[6:7], vcc
	s_xor_b64 s[6:7], exec, s[6:7]
	s_cbranch_execz .LBB18_1864
; %bb.1859:
	s_mov_b32 s8, 0x387fffff
	v_cmp_lt_u32_e32 vcc, s8, v3
                                        ; implicit-def: $vgpr1
	s_and_saveexec_b64 s[8:9], vcc
	s_xor_b64 s[8:9], exec, s[8:9]
; %bb.1860:
	v_bfe_u32 v1, v2, 21, 1
	s_mov_b32 s10, 0x80fffff
	v_add3_u32 v1, v2, v1, s10
	v_lshrrev_b32_e32 v1, 21, v1
; %bb.1861:
	s_andn2_saveexec_b64 s[8:9], s[8:9]
; %bb.1862:
	s_mov_b32 s10, 0x43000000
	v_add_f32_e64 v1, |v2|, s10
; %bb.1863:
	s_or_b64 exec, exec, s[8:9]
                                        ; implicit-def: $vgpr3
.LBB18_1864:
	s_andn2_saveexec_b64 s[6:7], s[6:7]
; %bb.1865:
	s_mov_b32 s8, 0x7f800000
	v_mov_b32_e32 v1, 0x7c
	v_mov_b32_e32 v5, 0x7f
	v_cmp_lt_u32_e32 vcc, s8, v3
	s_nop 1
	v_cndmask_b32_e32 v1, v1, v5, vcc
; %bb.1866:
	s_or_b64 exec, exec, s[6:7]
	v_lshrrev_b32_e32 v3, 24, v2
	s_movk_i32 s6, 0x80
	v_and_or_b32 v1, v3, s6, v1
	global_store_byte v[8:9], v1, off
.LBB18_1867:
	s_mov_b64 s[6:7], 0
	s_mov_b64 s[8:9], -1
.LBB18_1868:
	s_andn2_b64 vcc, exec, s[6:7]
	s_mov_b64 s[6:7], 0
	s_cbranch_vccnz .LBB18_1875
; %bb.1869:
	s_cmp_gt_i32 s19, 14
	s_mov_b64 s[10:11], -1
	s_cbranch_scc0 .LBB18_1873
; %bb.1870:
	s_cmp_eq_u32 s19, 15
	s_mov_b64 s[0:1], -1
	s_cbranch_scc0 .LBB18_1872
; %bb.1871:
	v_bfe_u32 v1, v2, 16, 1
	s_movk_i32 s0, 0x7fff
	v_add3_u32 v1, v2, v1, s0
	v_cmp_o_f32_e32 vcc, v2, v2
	v_mov_b32_e32 v3, 0x7fc0
	s_mov_b64 s[0:1], 0
	v_cndmask_b32_sdwa v1, v3, v1, vcc dst_sel:DWORD dst_unused:UNUSED_PAD src0_sel:DWORD src1_sel:WORD_1
	global_store_short v[8:9], v1, off
	s_mov_b64 s[8:9], -1
.LBB18_1872:
	s_mov_b64 s[10:11], 0
.LBB18_1873:
	s_and_b64 vcc, exec, s[10:11]
	s_cbranch_vccz .LBB18_1875
; %bb.1874:
	s_cmp_lg_u32 s19, 11
	s_mov_b64 s[6:7], -1
	s_cselect_b64 s[0:1], -1, 0
.LBB18_1875:
	s_and_b64 vcc, exec, s[0:1]
	s_cbranch_vccnz .LBB18_2125
; %bb.1876:
	s_andn2_b64 vcc, exec, s[6:7]
	s_cbranch_vccnz .LBB18_1878
.LBB18_1877:
	v_cmp_neq_f32_e32 vcc, 0, v2
	s_mov_b64 s[8:9], -1
	s_nop 0
	v_cndmask_b32_e64 v1, 0, 1, vcc
	global_store_byte v[8:9], v1, off
.LBB18_1878:
	s_mov_b64 s[0:1], 0
	s_branch .LBB18_1880
.LBB18_1879:
	s_mov_b64 s[0:1], -1
	s_mov_b64 s[8:9], 0
.LBB18_1880:
	s_and_b64 vcc, exec, s[0:1]
	s_cbranch_vccz .LBB18_1919
; %bb.1881:
	s_and_b32 s6, 0xffff, s20
	s_cmp_lt_i32 s6, 5
	s_mov_b64 s[0:1], -1
	s_cbranch_scc1 .LBB18_1902
; %bb.1882:
	s_cmp_lt_i32 s6, 8
	s_cbranch_scc1 .LBB18_1892
; %bb.1883:
	s_cmp_lt_i32 s6, 9
	s_cbranch_scc1 .LBB18_1889
; %bb.1884:
	s_cmp_gt_i32 s6, 9
	s_cbranch_scc0 .LBB18_1886
; %bb.1885:
	v_mov_b32_e32 v12, 0
	v_cvt_f64_f32_e32 v[10:11], v2
	v_mov_b32_e32 v13, v12
	global_store_dwordx4 v[8:9], v[10:13], off
	s_mov_b64 s[0:1], 0
.LBB18_1886:
	s_andn2_b64 vcc, exec, s[0:1]
	s_cbranch_vccnz .LBB18_1888
; %bb.1887:
	v_mov_b32_e32 v3, 0
	global_store_dwordx2 v[8:9], v[2:3], off
.LBB18_1888:
	s_mov_b64 s[0:1], 0
.LBB18_1889:
	s_andn2_b64 vcc, exec, s[0:1]
	s_cbranch_vccnz .LBB18_1891
; %bb.1890:
	v_cvt_f16_f32_e32 v1, v2
	global_store_dword v[8:9], v1, off
.LBB18_1891:
	s_mov_b64 s[0:1], 0
.LBB18_1892:
	s_andn2_b64 vcc, exec, s[0:1]
	s_cbranch_vccnz .LBB18_1901
; %bb.1893:
	s_cmp_lt_i32 s6, 6
	s_mov_b64 s[0:1], -1
	s_cbranch_scc1 .LBB18_1899
; %bb.1894:
	s_cmp_gt_i32 s6, 6
	s_cbranch_scc0 .LBB18_1896
; %bb.1895:
	v_cvt_f64_f32_e32 v[10:11], v2
	global_store_dwordx2 v[8:9], v[10:11], off
	s_mov_b64 s[0:1], 0
.LBB18_1896:
	s_andn2_b64 vcc, exec, s[0:1]
	s_cbranch_vccnz .LBB18_1898
; %bb.1897:
	global_store_dword v[8:9], v2, off
.LBB18_1898:
	s_mov_b64 s[0:1], 0
.LBB18_1899:
	s_andn2_b64 vcc, exec, s[0:1]
	s_cbranch_vccnz .LBB18_1901
; %bb.1900:
	v_cvt_f16_f32_e32 v1, v2
	global_store_short v[8:9], v1, off
.LBB18_1901:
	s_mov_b64 s[0:1], 0
.LBB18_1902:
	s_andn2_b64 vcc, exec, s[0:1]
	s_cbranch_vccnz .LBB18_1918
; %bb.1903:
	s_cmp_lt_i32 s6, 2
	s_mov_b64 s[0:1], -1
	s_cbranch_scc1 .LBB18_1913
; %bb.1904:
	s_cmp_lt_i32 s6, 3
	s_cbranch_scc1 .LBB18_1910
; %bb.1905:
	s_cmp_gt_i32 s6, 3
	s_cbranch_scc0 .LBB18_1907
; %bb.1906:
	v_trunc_f32_e32 v1, v2
	s_mov_b32 s0, 0x2f800000
	v_mul_f32_e64 v3, |v1|, s0
	v_floor_f32_e32 v3, v3
	s_mov_b32 s0, 0xcf800000
	v_cvt_u32_f32_e32 v5, v3
	v_fma_f32 v3, v3, s0, |v1|
	v_cvt_u32_f32_e32 v3, v3
	v_ashrrev_i32_e32 v1, 31, v1
	v_xor_b32_e32 v5, v5, v1
	s_mov_b64 s[0:1], 0
	v_xor_b32_e32 v3, v3, v1
	v_sub_co_u32_e32 v10, vcc, v3, v1
	s_nop 1
	v_subb_co_u32_e32 v11, vcc, v5, v1, vcc
	global_store_dwordx2 v[8:9], v[10:11], off
.LBB18_1907:
	s_andn2_b64 vcc, exec, s[0:1]
	s_cbranch_vccnz .LBB18_1909
; %bb.1908:
	v_cvt_i32_f32_e32 v1, v2
	global_store_dword v[8:9], v1, off
.LBB18_1909:
	s_mov_b64 s[0:1], 0
.LBB18_1910:
	s_andn2_b64 vcc, exec, s[0:1]
	s_cbranch_vccnz .LBB18_1912
; %bb.1911:
	v_cvt_i32_f32_e32 v1, v2
	global_store_short v[8:9], v1, off
.LBB18_1912:
	s_mov_b64 s[0:1], 0
.LBB18_1913:
	s_andn2_b64 vcc, exec, s[0:1]
	s_cbranch_vccnz .LBB18_1918
; %bb.1914:
	s_cmp_gt_i32 s6, 0
	s_mov_b64 s[0:1], -1
	s_cbranch_scc0 .LBB18_1916
; %bb.1915:
	v_cvt_i32_f32_e32 v1, v2
	s_mov_b64 s[0:1], 0
	global_store_byte v[8:9], v1, off
.LBB18_1916:
	s_andn2_b64 vcc, exec, s[0:1]
	s_cbranch_vccnz .LBB18_1918
; %bb.1917:
	v_trunc_f32_e32 v1, v2
	s_mov_b32 s0, 0x2f800000
	v_mul_f32_e64 v2, |v1|, s0
	v_floor_f32_e32 v2, v2
	s_mov_b32 s0, 0xcf800000
	v_fma_f32 v2, v2, s0, |v1|
	v_cvt_u32_f32_e32 v2, v2
	v_ashrrev_i32_e32 v1, 31, v1
	v_xor_b32_e32 v2, v2, v1
	v_sub_u32_e32 v1, v2, v1
	global_store_byte v[8:9], v1, off
.LBB18_1918:
	s_mov_b64 s[8:9], -1
.LBB18_1919:
	s_andn2_b64 vcc, exec, s[8:9]
	s_cbranch_vccnz .LBB18_2115
; %bb.1920:
	v_add_u32_e32 v0, s18, v0
	v_ashrrev_i32_e32 v1, 31, v0
	s_cmp_lt_i32 s20, 11
	v_lshl_add_u64 v[2:3], s[4:5], 0, v[0:1]
	s_cbranch_scc1 .LBB18_1998
; %bb.1921:
	s_and_b32 s19, 0xffff, s20
	s_mov_b64 s[10:11], -1
	s_mov_b64 s[6:7], 0
	s_cmp_gt_i32 s19, 25
	s_mov_b64 s[8:9], 0
	s_mov_b64 s[0:1], 0
	s_cbranch_scc0 .LBB18_1954
; %bb.1922:
	s_cmp_gt_i32 s19, 28
	s_cbranch_scc0 .LBB18_1937
; %bb.1923:
	s_cmp_gt_i32 s19, 43
	;; [unrolled: 3-line block ×3, first 2 shown]
	s_cbranch_scc0 .LBB18_1927
; %bb.1925:
	s_mov_b64 s[0:1], -1
	s_mov_b64 s[10:11], 0
	s_cmp_eq_u32 s19, 46
	s_cbranch_scc0 .LBB18_1927
; %bb.1926:
	v_bfe_u32 v1, v4, 16, 1
	s_movk_i32 s0, 0x7fff
	v_add3_u32 v1, v4, v1, s0
	v_cmp_o_f32_e32 vcc, v4, v4
	v_mov_b32_e32 v5, 0x7fc0
	s_mov_b64 s[0:1], 0
	v_cndmask_b32_sdwa v1, v5, v1, vcc dst_sel:DWORD dst_unused:UNUSED_PAD src0_sel:DWORD src1_sel:WORD_1
	global_store_dword v[2:3], v1, off
	s_mov_b64 s[8:9], -1
.LBB18_1927:
	s_and_b64 vcc, exec, s[10:11]
	s_cbranch_vccz .LBB18_1932
; %bb.1928:
	s_cmp_eq_u32 s19, 44
	s_mov_b64 s[0:1], -1
	s_cbranch_scc0 .LBB18_1932
; %bb.1929:
	v_bfe_u32 v1, v4, 23, 8
	s_movk_i32 s0, 0xff
	v_cmp_ne_u32_e32 vcc, s0, v1
	v_mov_b32_e32 v5, 0xff
	s_and_saveexec_b64 s[8:9], vcc
; %bb.1930:
	s_mov_b32 s0, 0x3fffff
	v_and_b32_e32 v7, 0x400000, v4
	v_and_or_b32 v1, v4, s0, v1
	v_cmp_ne_u32_e32 vcc, 0, v7
	v_cmp_ne_u32_e64 s[0:1], 0, v1
	s_and_b64 s[0:1], vcc, s[0:1]
	v_lshrrev_b32_e32 v5, 23, v4
	v_cndmask_b32_e64 v1, 0, 1, s[0:1]
	v_add_u32_e32 v5, v5, v1
; %bb.1931:
	s_or_b64 exec, exec, s[8:9]
	s_mov_b64 s[0:1], 0
	s_mov_b64 s[8:9], -1
	global_store_byte v[2:3], v5, off
.LBB18_1932:
	s_mov_b64 s[10:11], 0
.LBB18_1933:
	s_and_b64 vcc, exec, s[10:11]
	s_cbranch_vccz .LBB18_1936
; %bb.1934:
	s_cmp_eq_u32 s19, 29
	s_mov_b64 s[0:1], -1
	s_cbranch_scc0 .LBB18_1936
; %bb.1935:
	v_trunc_f32_e32 v1, v4
	v_mul_f32_e32 v5, 0x2f800000, v1
	v_floor_f32_e32 v5, v5
	v_fmamk_f32 v1, v5, 0xcf800000, v1
	v_cvt_u32_f32_e32 v9, v5
	v_cvt_u32_f32_e32 v8, v1
	s_mov_b64 s[0:1], 0
	s_mov_b64 s[8:9], -1
	global_store_dwordx2 v[2:3], v[8:9], off
.LBB18_1936:
	s_mov_b64 s[10:11], 0
.LBB18_1937:
	s_and_b64 vcc, exec, s[10:11]
	s_cbranch_vccz .LBB18_1953
; %bb.1938:
	s_cmp_lt_i32 s19, 27
	s_mov_b64 s[8:9], -1
	s_cbranch_scc1 .LBB18_1944
; %bb.1939:
	v_cvt_u32_f32_e32 v1, v4
	s_cmp_gt_i32 s19, 27
	s_cbranch_scc0 .LBB18_1941
; %bb.1940:
	s_mov_b64 s[8:9], 0
	global_store_dword v[2:3], v1, off
.LBB18_1941:
	s_andn2_b64 vcc, exec, s[8:9]
	s_cbranch_vccnz .LBB18_1943
; %bb.1942:
	global_store_short v[2:3], v1, off
.LBB18_1943:
	s_mov_b64 s[8:9], 0
.LBB18_1944:
	s_andn2_b64 vcc, exec, s[8:9]
	s_cbranch_vccnz .LBB18_1952
; %bb.1945:
	v_and_b32_e32 v1, 0x7fffffff, v4
	s_mov_b32 s8, 0x43800000
	v_cmp_gt_u32_e32 vcc, s8, v1
	v_mov_b32_e32 v5, 0x80
	s_and_saveexec_b64 s[8:9], vcc
	s_cbranch_execz .LBB18_1951
; %bb.1946:
	s_mov_b32 s10, 0x3bffffff
	v_cmp_lt_u32_e32 vcc, s10, v1
	s_mov_b64 s[10:11], 0
                                        ; implicit-def: $vgpr1
	s_and_saveexec_b64 s[16:17], vcc
	s_xor_b64 s[16:17], exec, s[16:17]
	s_cbranch_execz .LBB18_2128
; %bb.1947:
	v_bfe_u32 v1, v4, 20, 1
	s_mov_b32 s21, 0x487ffff
	v_add3_u32 v1, v4, v1, s21
	s_mov_b64 s[10:11], exec
	v_lshrrev_b32_e32 v1, 20, v1
	s_andn2_saveexec_b64 s[16:17], s[16:17]
	s_cbranch_execnz .LBB18_2129
.LBB18_1948:
	s_or_b64 exec, exec, s[16:17]
	v_mov_b32_e32 v5, 0
	s_and_saveexec_b64 s[16:17], s[10:11]
.LBB18_1949:
	v_lshrrev_b32_e32 v5, 24, v4
	s_movk_i32 s10, 0x80
	v_and_or_b32 v5, v5, s10, v1
.LBB18_1950:
	s_or_b64 exec, exec, s[16:17]
.LBB18_1951:
	s_or_b64 exec, exec, s[8:9]
	global_store_byte v[2:3], v5, off
.LBB18_1952:
	s_mov_b64 s[8:9], -1
.LBB18_1953:
	s_mov_b64 s[10:11], 0
.LBB18_1954:
	s_and_b64 vcc, exec, s[10:11]
	s_cbranch_vccz .LBB18_1994
; %bb.1955:
	s_cmp_gt_i32 s19, 22
	s_mov_b64 s[6:7], -1
	s_cbranch_scc0 .LBB18_1987
; %bb.1956:
	s_cmp_lt_i32 s19, 24
	s_cbranch_scc1 .LBB18_1976
; %bb.1957:
	s_cmp_gt_i32 s19, 24
	s_cbranch_scc0 .LBB18_1965
; %bb.1958:
	v_and_b32_e32 v1, 0x7fffffff, v4
	s_mov_b32 s6, 0x47800000
	v_cmp_gt_u32_e32 vcc, s6, v1
	v_mov_b32_e32 v5, 0x80
	s_and_saveexec_b64 s[6:7], vcc
	s_cbranch_execz .LBB18_1964
; %bb.1959:
	s_mov_b32 s8, 0x37ffffff
	v_cmp_lt_u32_e32 vcc, s8, v1
	s_mov_b64 s[8:9], 0
                                        ; implicit-def: $vgpr1
	s_and_saveexec_b64 s[10:11], vcc
	s_xor_b64 s[10:11], exec, s[10:11]
	s_cbranch_execz .LBB18_2131
; %bb.1960:
	v_bfe_u32 v1, v4, 21, 1
	s_mov_b32 s16, 0x88fffff
	v_add3_u32 v1, v4, v1, s16
	s_mov_b64 s[8:9], exec
	v_lshrrev_b32_e32 v1, 21, v1
	s_andn2_saveexec_b64 s[10:11], s[10:11]
	s_cbranch_execnz .LBB18_2132
.LBB18_1961:
	s_or_b64 exec, exec, s[10:11]
	v_mov_b32_e32 v5, 0
	s_and_saveexec_b64 s[10:11], s[8:9]
.LBB18_1962:
	v_lshrrev_b32_e32 v5, 24, v4
	s_movk_i32 s8, 0x80
	v_and_or_b32 v5, v5, s8, v1
.LBB18_1963:
	s_or_b64 exec, exec, s[10:11]
.LBB18_1964:
	s_or_b64 exec, exec, s[6:7]
	s_mov_b64 s[6:7], 0
	global_store_byte v[2:3], v5, off
.LBB18_1965:
	s_and_b64 vcc, exec, s[6:7]
	s_cbranch_vccz .LBB18_1975
; %bb.1966:
	v_and_b32_e32 v5, 0x7fffffff, v4
	s_mov_b32 s6, 0x43f00000
	v_cmp_gt_u32_e32 vcc, s6, v5
                                        ; implicit-def: $vgpr1
	s_and_saveexec_b64 s[6:7], vcc
	s_xor_b64 s[6:7], exec, s[6:7]
	s_cbranch_execz .LBB18_1972
; %bb.1967:
	s_mov_b32 s8, 0x3c7fffff
	v_cmp_lt_u32_e32 vcc, s8, v5
                                        ; implicit-def: $vgpr1
	s_and_saveexec_b64 s[8:9], vcc
	s_xor_b64 s[8:9], exec, s[8:9]
; %bb.1968:
	v_bfe_u32 v1, v4, 20, 1
	s_mov_b32 s10, 0x407ffff
	v_add3_u32 v1, v4, v1, s10
	v_lshrrev_b32_e32 v5, 20, v1
	v_and_b32_e32 v1, 0xff00000, v1
	s_mov_b32 s10, 0x7f00000
	v_mov_b32_e32 v7, 0x7e
	v_cmp_ne_u32_e32 vcc, s10, v1
	s_nop 1
	v_cndmask_b32_e32 v1, v7, v5, vcc
; %bb.1969:
	s_andn2_saveexec_b64 s[8:9], s[8:9]
; %bb.1970:
	s_mov_b32 s10, 0x46800000
	v_add_f32_e64 v1, |v4|, s10
; %bb.1971:
	s_or_b64 exec, exec, s[8:9]
                                        ; implicit-def: $vgpr5
.LBB18_1972:
	s_andn2_saveexec_b64 s[6:7], s[6:7]
; %bb.1973:
	s_mov_b32 s8, 0x7f800000
	v_mov_b32_e32 v1, 0x7e
	v_mov_b32_e32 v7, 0x7f
	v_cmp_lt_u32_e32 vcc, s8, v5
	s_nop 1
	v_cndmask_b32_e32 v1, v1, v7, vcc
; %bb.1974:
	s_or_b64 exec, exec, s[6:7]
	v_lshrrev_b32_e32 v5, 24, v4
	s_movk_i32 s6, 0x80
	v_and_or_b32 v1, v5, s6, v1
	global_store_byte v[2:3], v1, off
.LBB18_1975:
	s_mov_b64 s[6:7], 0
.LBB18_1976:
	s_andn2_b64 vcc, exec, s[6:7]
	s_cbranch_vccnz .LBB18_1986
; %bb.1977:
	v_and_b32_e32 v5, 0x7fffffff, v4
	s_mov_b32 s6, 0x47800000
	v_cmp_gt_u32_e32 vcc, s6, v5
                                        ; implicit-def: $vgpr1
	s_and_saveexec_b64 s[6:7], vcc
	s_xor_b64 s[6:7], exec, s[6:7]
	s_cbranch_execz .LBB18_1983
; %bb.1978:
	s_mov_b32 s8, 0x387fffff
	v_cmp_lt_u32_e32 vcc, s8, v5
                                        ; implicit-def: $vgpr1
	s_and_saveexec_b64 s[8:9], vcc
	s_xor_b64 s[8:9], exec, s[8:9]
; %bb.1979:
	v_bfe_u32 v1, v4, 21, 1
	s_mov_b32 s10, 0x80fffff
	v_add3_u32 v1, v4, v1, s10
	v_lshrrev_b32_e32 v1, 21, v1
; %bb.1980:
	s_andn2_saveexec_b64 s[8:9], s[8:9]
; %bb.1981:
	s_mov_b32 s10, 0x43000000
	v_add_f32_e64 v1, |v4|, s10
; %bb.1982:
	s_or_b64 exec, exec, s[8:9]
                                        ; implicit-def: $vgpr5
.LBB18_1983:
	s_andn2_saveexec_b64 s[6:7], s[6:7]
; %bb.1984:
	s_mov_b32 s8, 0x7f800000
	v_mov_b32_e32 v1, 0x7c
	v_mov_b32_e32 v7, 0x7f
	v_cmp_lt_u32_e32 vcc, s8, v5
	s_nop 1
	v_cndmask_b32_e32 v1, v1, v7, vcc
; %bb.1985:
	s_or_b64 exec, exec, s[6:7]
	v_lshrrev_b32_e32 v5, 24, v4
	s_movk_i32 s6, 0x80
	v_and_or_b32 v1, v5, s6, v1
	global_store_byte v[2:3], v1, off
.LBB18_1986:
	s_mov_b64 s[6:7], 0
	s_mov_b64 s[8:9], -1
.LBB18_1987:
	s_andn2_b64 vcc, exec, s[6:7]
	s_mov_b64 s[6:7], 0
	s_cbranch_vccnz .LBB18_1994
; %bb.1988:
	s_cmp_gt_i32 s19, 14
	s_mov_b64 s[10:11], -1
	s_cbranch_scc0 .LBB18_1992
; %bb.1989:
	s_cmp_eq_u32 s19, 15
	s_mov_b64 s[0:1], -1
	s_cbranch_scc0 .LBB18_1991
; %bb.1990:
	v_bfe_u32 v1, v4, 16, 1
	s_movk_i32 s0, 0x7fff
	v_add3_u32 v1, v4, v1, s0
	v_cmp_o_f32_e32 vcc, v4, v4
	v_mov_b32_e32 v5, 0x7fc0
	s_mov_b64 s[0:1], 0
	v_cndmask_b32_sdwa v1, v5, v1, vcc dst_sel:DWORD dst_unused:UNUSED_PAD src0_sel:DWORD src1_sel:WORD_1
	global_store_short v[2:3], v1, off
	s_mov_b64 s[8:9], -1
.LBB18_1991:
	s_mov_b64 s[10:11], 0
.LBB18_1992:
	s_and_b64 vcc, exec, s[10:11]
	s_cbranch_vccz .LBB18_1994
; %bb.1993:
	s_cmp_lg_u32 s19, 11
	s_mov_b64 s[6:7], -1
	s_cselect_b64 s[0:1], -1, 0
.LBB18_1994:
	s_and_b64 vcc, exec, s[0:1]
	s_cbranch_vccnz .LBB18_2130
; %bb.1995:
	s_andn2_b64 vcc, exec, s[6:7]
	s_cbranch_vccnz .LBB18_1997
.LBB18_1996:
	v_cmp_neq_f32_e32 vcc, 0, v4
	s_mov_b64 s[8:9], -1
	s_nop 0
	v_cndmask_b32_e64 v1, 0, 1, vcc
	global_store_byte v[2:3], v1, off
.LBB18_1997:
	s_mov_b64 s[0:1], 0
	s_branch .LBB18_1999
.LBB18_1998:
	s_mov_b64 s[0:1], -1
	s_mov_b64 s[8:9], 0
.LBB18_1999:
	s_and_b64 vcc, exec, s[0:1]
	s_cbranch_vccz .LBB18_2038
; %bb.2000:
	s_and_b32 s6, 0xffff, s20
	s_cmp_lt_i32 s6, 5
	s_mov_b64 s[0:1], -1
	s_cbranch_scc1 .LBB18_2021
; %bb.2001:
	s_cmp_lt_i32 s6, 8
	s_cbranch_scc1 .LBB18_2011
; %bb.2002:
	s_cmp_lt_i32 s6, 9
	s_cbranch_scc1 .LBB18_2008
; %bb.2003:
	s_cmp_gt_i32 s6, 9
	s_cbranch_scc0 .LBB18_2005
; %bb.2004:
	v_mov_b32_e32 v10, 0
	v_cvt_f64_f32_e32 v[8:9], v4
	v_mov_b32_e32 v11, v10
	global_store_dwordx4 v[2:3], v[8:11], off
	s_mov_b64 s[0:1], 0
.LBB18_2005:
	s_andn2_b64 vcc, exec, s[0:1]
	s_cbranch_vccnz .LBB18_2007
; %bb.2006:
	v_mov_b32_e32 v5, 0
	global_store_dwordx2 v[2:3], v[4:5], off
.LBB18_2007:
	s_mov_b64 s[0:1], 0
.LBB18_2008:
	s_andn2_b64 vcc, exec, s[0:1]
	s_cbranch_vccnz .LBB18_2010
; %bb.2009:
	v_cvt_f16_f32_e32 v1, v4
	global_store_dword v[2:3], v1, off
.LBB18_2010:
	s_mov_b64 s[0:1], 0
.LBB18_2011:
	s_andn2_b64 vcc, exec, s[0:1]
	s_cbranch_vccnz .LBB18_2020
; %bb.2012:
	s_cmp_lt_i32 s6, 6
	s_mov_b64 s[0:1], -1
	s_cbranch_scc1 .LBB18_2018
; %bb.2013:
	s_cmp_gt_i32 s6, 6
	s_cbranch_scc0 .LBB18_2015
; %bb.2014:
	v_cvt_f64_f32_e32 v[8:9], v4
	global_store_dwordx2 v[2:3], v[8:9], off
	s_mov_b64 s[0:1], 0
.LBB18_2015:
	s_andn2_b64 vcc, exec, s[0:1]
	s_cbranch_vccnz .LBB18_2017
; %bb.2016:
	global_store_dword v[2:3], v4, off
.LBB18_2017:
	s_mov_b64 s[0:1], 0
.LBB18_2018:
	s_andn2_b64 vcc, exec, s[0:1]
	s_cbranch_vccnz .LBB18_2020
; %bb.2019:
	v_cvt_f16_f32_e32 v1, v4
	global_store_short v[2:3], v1, off
.LBB18_2020:
	s_mov_b64 s[0:1], 0
.LBB18_2021:
	s_andn2_b64 vcc, exec, s[0:1]
	s_cbranch_vccnz .LBB18_2037
; %bb.2022:
	s_cmp_lt_i32 s6, 2
	s_mov_b64 s[0:1], -1
	s_cbranch_scc1 .LBB18_2032
; %bb.2023:
	s_cmp_lt_i32 s6, 3
	s_cbranch_scc1 .LBB18_2029
; %bb.2024:
	s_cmp_gt_i32 s6, 3
	s_cbranch_scc0 .LBB18_2026
; %bb.2025:
	v_trunc_f32_e32 v1, v4
	s_mov_b32 s0, 0x2f800000
	v_mul_f32_e64 v5, |v1|, s0
	v_floor_f32_e32 v5, v5
	s_mov_b32 s0, 0xcf800000
	v_cvt_u32_f32_e32 v7, v5
	v_fma_f32 v5, v5, s0, |v1|
	v_cvt_u32_f32_e32 v5, v5
	v_ashrrev_i32_e32 v1, 31, v1
	v_xor_b32_e32 v7, v7, v1
	s_mov_b64 s[0:1], 0
	v_xor_b32_e32 v5, v5, v1
	v_sub_co_u32_e32 v8, vcc, v5, v1
	s_nop 1
	v_subb_co_u32_e32 v9, vcc, v7, v1, vcc
	global_store_dwordx2 v[2:3], v[8:9], off
.LBB18_2026:
	s_andn2_b64 vcc, exec, s[0:1]
	s_cbranch_vccnz .LBB18_2028
; %bb.2027:
	v_cvt_i32_f32_e32 v1, v4
	global_store_dword v[2:3], v1, off
.LBB18_2028:
	s_mov_b64 s[0:1], 0
.LBB18_2029:
	s_andn2_b64 vcc, exec, s[0:1]
	s_cbranch_vccnz .LBB18_2031
; %bb.2030:
	v_cvt_i32_f32_e32 v1, v4
	global_store_short v[2:3], v1, off
.LBB18_2031:
	s_mov_b64 s[0:1], 0
.LBB18_2032:
	s_andn2_b64 vcc, exec, s[0:1]
	s_cbranch_vccnz .LBB18_2037
; %bb.2033:
	s_cmp_gt_i32 s6, 0
	s_mov_b64 s[0:1], -1
	s_cbranch_scc0 .LBB18_2035
; %bb.2034:
	v_cvt_i32_f32_e32 v1, v4
	s_mov_b64 s[0:1], 0
	global_store_byte v[2:3], v1, off
.LBB18_2035:
	s_andn2_b64 vcc, exec, s[0:1]
	s_cbranch_vccnz .LBB18_2037
; %bb.2036:
	v_trunc_f32_e32 v1, v4
	s_mov_b32 s0, 0x2f800000
	v_mul_f32_e64 v4, |v1|, s0
	v_floor_f32_e32 v4, v4
	s_mov_b32 s0, 0xcf800000
	v_fma_f32 v4, v4, s0, |v1|
	v_cvt_u32_f32_e32 v4, v4
	v_ashrrev_i32_e32 v1, 31, v1
	v_xor_b32_e32 v4, v4, v1
	v_sub_u32_e32 v1, v4, v1
	global_store_byte v[2:3], v1, off
.LBB18_2037:
	s_mov_b64 s[8:9], -1
.LBB18_2038:
	s_andn2_b64 vcc, exec, s[8:9]
	s_cbranch_vccnz .LBB18_2115
; %bb.2039:
	v_add_u32_e32 v0, s18, v0
	v_ashrrev_i32_e32 v1, 31, v0
	s_cmp_lt_i32 s20, 11
	v_lshl_add_u64 v[0:1], s[4:5], 0, v[0:1]
	s_cbranch_scc1 .LBB18_2116
; %bb.2040:
	s_and_b32 s16, 0xffff, s20
	s_mov_b64 s[6:7], -1
	s_mov_b64 s[4:5], 0
	s_cmp_gt_i32 s16, 25
	s_mov_b64 s[0:1], 0
	s_cbranch_scc0 .LBB18_2073
; %bb.2041:
	s_cmp_gt_i32 s16, 28
	s_cbranch_scc0 .LBB18_2057
; %bb.2042:
	s_cmp_gt_i32 s16, 43
	;; [unrolled: 3-line block ×3, first 2 shown]
	s_cbranch_scc0 .LBB18_2047
; %bb.2044:
	s_cmp_eq_u32 s16, 46
	s_mov_b64 s[0:1], -1
	s_cbranch_scc0 .LBB18_2046
; %bb.2045:
	v_bfe_u32 v2, v6, 16, 1
	s_movk_i32 s0, 0x7fff
	v_add3_u32 v2, v6, v2, s0
	v_cmp_o_f32_e32 vcc, v6, v6
	v_mov_b32_e32 v3, 0x7fc0
	s_mov_b64 s[0:1], 0
	v_cndmask_b32_sdwa v2, v3, v2, vcc dst_sel:DWORD dst_unused:UNUSED_PAD src0_sel:DWORD src1_sel:WORD_1
	global_store_dword v[0:1], v2, off
.LBB18_2046:
	s_mov_b64 s[6:7], 0
.LBB18_2047:
	s_and_b64 vcc, exec, s[6:7]
	s_cbranch_vccz .LBB18_2052
; %bb.2048:
	s_cmp_eq_u32 s16, 44
	s_mov_b64 s[0:1], -1
	s_cbranch_scc0 .LBB18_2052
; %bb.2049:
	v_bfe_u32 v2, v6, 23, 8
	s_movk_i32 s0, 0xff
	v_cmp_ne_u32_e32 vcc, s0, v2
	v_mov_b32_e32 v3, 0xff
	s_and_saveexec_b64 s[6:7], vcc
; %bb.2050:
	s_mov_b32 s0, 0x3fffff
	v_and_b32_e32 v4, 0x400000, v6
	v_and_or_b32 v2, v6, s0, v2
	v_cmp_ne_u32_e32 vcc, 0, v4
	v_cmp_ne_u32_e64 s[0:1], 0, v2
	s_and_b64 s[0:1], vcc, s[0:1]
	v_lshrrev_b32_e32 v3, 23, v6
	v_cndmask_b32_e64 v2, 0, 1, s[0:1]
	v_add_u32_e32 v3, v3, v2
; %bb.2051:
	s_or_b64 exec, exec, s[6:7]
	s_mov_b64 s[0:1], 0
	global_store_byte v[0:1], v3, off
.LBB18_2052:
	s_mov_b64 s[6:7], 0
.LBB18_2053:
	s_and_b64 vcc, exec, s[6:7]
	s_cbranch_vccz .LBB18_2056
; %bb.2054:
	s_cmp_eq_u32 s16, 29
	s_mov_b64 s[0:1], -1
	s_cbranch_scc0 .LBB18_2056
; %bb.2055:
	v_trunc_f32_e32 v2, v6
	v_mul_f32_e32 v3, 0x2f800000, v2
	v_floor_f32_e32 v4, v3
	v_fmamk_f32 v2, v4, 0xcf800000, v2
	v_cvt_u32_f32_e32 v3, v4
	v_cvt_u32_f32_e32 v2, v2
	s_mov_b64 s[0:1], 0
	global_store_dwordx2 v[0:1], v[2:3], off
.LBB18_2056:
	s_mov_b64 s[6:7], 0
.LBB18_2057:
	s_and_b64 vcc, exec, s[6:7]
	s_cbranch_vccz .LBB18_2072
; %bb.2058:
	s_cmp_lt_i32 s16, 27
	s_mov_b64 s[6:7], -1
	s_cbranch_scc1 .LBB18_2064
; %bb.2059:
	v_cvt_u32_f32_e32 v2, v6
	s_cmp_gt_i32 s16, 27
	s_cbranch_scc0 .LBB18_2061
; %bb.2060:
	global_store_dword v[0:1], v2, off
	s_mov_b64 s[6:7], 0
.LBB18_2061:
	s_andn2_b64 vcc, exec, s[6:7]
	s_cbranch_vccnz .LBB18_2063
; %bb.2062:
	global_store_short v[0:1], v2, off
.LBB18_2063:
	s_mov_b64 s[6:7], 0
.LBB18_2064:
	s_andn2_b64 vcc, exec, s[6:7]
	s_cbranch_vccnz .LBB18_2072
; %bb.2065:
	v_and_b32_e32 v2, 0x7fffffff, v6
	s_mov_b32 s6, 0x43800000
	v_cmp_gt_u32_e32 vcc, s6, v2
	v_mov_b32_e32 v3, 0x80
	s_and_saveexec_b64 s[6:7], vcc
	s_cbranch_execz .LBB18_2071
; %bb.2066:
	s_mov_b32 s8, 0x3bffffff
	v_cmp_lt_u32_e32 vcc, s8, v2
	s_mov_b64 s[8:9], 0
                                        ; implicit-def: $vgpr2
	s_and_saveexec_b64 s[10:11], vcc
	s_xor_b64 s[10:11], exec, s[10:11]
	s_cbranch_execz .LBB18_2133
; %bb.2067:
	v_bfe_u32 v2, v6, 20, 1
	s_mov_b32 s17, 0x487ffff
	v_add3_u32 v2, v6, v2, s17
	s_mov_b64 s[8:9], exec
	v_lshrrev_b32_e32 v2, 20, v2
	s_andn2_saveexec_b64 s[10:11], s[10:11]
	s_cbranch_execnz .LBB18_2134
.LBB18_2068:
	s_or_b64 exec, exec, s[10:11]
	v_mov_b32_e32 v3, 0
	s_and_saveexec_b64 s[10:11], s[8:9]
.LBB18_2069:
	v_lshrrev_b32_e32 v3, 24, v6
	s_movk_i32 s8, 0x80
	v_and_or_b32 v3, v3, s8, v2
.LBB18_2070:
	s_or_b64 exec, exec, s[10:11]
.LBB18_2071:
	s_or_b64 exec, exec, s[6:7]
	global_store_byte v[0:1], v3, off
.LBB18_2072:
	s_mov_b64 s[6:7], 0
.LBB18_2073:
	s_and_b64 vcc, exec, s[6:7]
	s_cbranch_vccz .LBB18_2113
; %bb.2074:
	s_cmp_gt_i32 s16, 22
	s_mov_b64 s[4:5], -1
	s_cbranch_scc0 .LBB18_2106
; %bb.2075:
	s_cmp_lt_i32 s16, 24
	s_cbranch_scc1 .LBB18_2095
; %bb.2076:
	s_cmp_gt_i32 s16, 24
	s_cbranch_scc0 .LBB18_2084
; %bb.2077:
	v_and_b32_e32 v2, 0x7fffffff, v6
	s_mov_b32 s4, 0x47800000
	v_cmp_gt_u32_e32 vcc, s4, v2
	v_mov_b32_e32 v3, 0x80
	s_and_saveexec_b64 s[4:5], vcc
	s_cbranch_execz .LBB18_2083
; %bb.2078:
	s_mov_b32 s6, 0x37ffffff
	v_cmp_lt_u32_e32 vcc, s6, v2
	s_mov_b64 s[6:7], 0
                                        ; implicit-def: $vgpr2
	s_and_saveexec_b64 s[8:9], vcc
	s_xor_b64 s[8:9], exec, s[8:9]
	s_cbranch_execz .LBB18_2136
; %bb.2079:
	v_bfe_u32 v2, v6, 21, 1
	s_mov_b32 s10, 0x88fffff
	v_add3_u32 v2, v6, v2, s10
	s_mov_b64 s[6:7], exec
	v_lshrrev_b32_e32 v2, 21, v2
	s_andn2_saveexec_b64 s[8:9], s[8:9]
	s_cbranch_execnz .LBB18_2137
.LBB18_2080:
	s_or_b64 exec, exec, s[8:9]
	v_mov_b32_e32 v3, 0
	s_and_saveexec_b64 s[8:9], s[6:7]
.LBB18_2081:
	v_lshrrev_b32_e32 v3, 24, v6
	s_movk_i32 s6, 0x80
	v_and_or_b32 v3, v3, s6, v2
.LBB18_2082:
	s_or_b64 exec, exec, s[8:9]
.LBB18_2083:
	s_or_b64 exec, exec, s[4:5]
	s_mov_b64 s[4:5], 0
	global_store_byte v[0:1], v3, off
.LBB18_2084:
	s_and_b64 vcc, exec, s[4:5]
	s_cbranch_vccz .LBB18_2094
; %bb.2085:
	v_and_b32_e32 v3, 0x7fffffff, v6
	s_mov_b32 s4, 0x43f00000
	v_cmp_gt_u32_e32 vcc, s4, v3
                                        ; implicit-def: $vgpr2
	s_and_saveexec_b64 s[4:5], vcc
	s_xor_b64 s[4:5], exec, s[4:5]
	s_cbranch_execz .LBB18_2091
; %bb.2086:
	s_mov_b32 s6, 0x3c7fffff
	v_cmp_lt_u32_e32 vcc, s6, v3
                                        ; implicit-def: $vgpr2
	s_and_saveexec_b64 s[6:7], vcc
	s_xor_b64 s[6:7], exec, s[6:7]
; %bb.2087:
	v_bfe_u32 v2, v6, 20, 1
	s_mov_b32 s8, 0x407ffff
	v_add3_u32 v2, v6, v2, s8
	v_lshrrev_b32_e32 v3, 20, v2
	v_and_b32_e32 v2, 0xff00000, v2
	s_mov_b32 s8, 0x7f00000
	v_mov_b32_e32 v4, 0x7e
	v_cmp_ne_u32_e32 vcc, s8, v2
	s_nop 1
	v_cndmask_b32_e32 v2, v4, v3, vcc
; %bb.2088:
	s_andn2_saveexec_b64 s[6:7], s[6:7]
; %bb.2089:
	s_mov_b32 s8, 0x46800000
	v_add_f32_e64 v2, |v6|, s8
; %bb.2090:
	s_or_b64 exec, exec, s[6:7]
                                        ; implicit-def: $vgpr3
.LBB18_2091:
	s_andn2_saveexec_b64 s[4:5], s[4:5]
; %bb.2092:
	s_mov_b32 s6, 0x7f800000
	v_mov_b32_e32 v2, 0x7e
	v_mov_b32_e32 v4, 0x7f
	v_cmp_lt_u32_e32 vcc, s6, v3
	s_nop 1
	v_cndmask_b32_e32 v2, v2, v4, vcc
; %bb.2093:
	s_or_b64 exec, exec, s[4:5]
	v_lshrrev_b32_e32 v3, 24, v6
	s_movk_i32 s4, 0x80
	v_and_or_b32 v2, v3, s4, v2
	global_store_byte v[0:1], v2, off
.LBB18_2094:
	s_mov_b64 s[4:5], 0
.LBB18_2095:
	s_andn2_b64 vcc, exec, s[4:5]
	s_cbranch_vccnz .LBB18_2105
; %bb.2096:
	v_and_b32_e32 v3, 0x7fffffff, v6
	s_mov_b32 s4, 0x47800000
	v_cmp_gt_u32_e32 vcc, s4, v3
                                        ; implicit-def: $vgpr2
	s_and_saveexec_b64 s[4:5], vcc
	s_xor_b64 s[4:5], exec, s[4:5]
	s_cbranch_execz .LBB18_2102
; %bb.2097:
	s_mov_b32 s6, 0x387fffff
	v_cmp_lt_u32_e32 vcc, s6, v3
                                        ; implicit-def: $vgpr2
	s_and_saveexec_b64 s[6:7], vcc
	s_xor_b64 s[6:7], exec, s[6:7]
; %bb.2098:
	v_bfe_u32 v2, v6, 21, 1
	s_mov_b32 s8, 0x80fffff
	v_add3_u32 v2, v6, v2, s8
	v_lshrrev_b32_e32 v2, 21, v2
; %bb.2099:
	s_andn2_saveexec_b64 s[6:7], s[6:7]
; %bb.2100:
	s_mov_b32 s8, 0x43000000
	v_add_f32_e64 v2, |v6|, s8
; %bb.2101:
	s_or_b64 exec, exec, s[6:7]
                                        ; implicit-def: $vgpr3
.LBB18_2102:
	s_andn2_saveexec_b64 s[4:5], s[4:5]
; %bb.2103:
	s_mov_b32 s6, 0x7f800000
	v_mov_b32_e32 v2, 0x7c
	v_mov_b32_e32 v4, 0x7f
	v_cmp_lt_u32_e32 vcc, s6, v3
	s_nop 1
	v_cndmask_b32_e32 v2, v2, v4, vcc
; %bb.2104:
	s_or_b64 exec, exec, s[4:5]
	v_lshrrev_b32_e32 v3, 24, v6
	s_movk_i32 s4, 0x80
	v_and_or_b32 v2, v3, s4, v2
	global_store_byte v[0:1], v2, off
.LBB18_2105:
	s_mov_b64 s[4:5], 0
.LBB18_2106:
	s_andn2_b64 vcc, exec, s[4:5]
	s_mov_b64 s[4:5], 0
	s_cbranch_vccnz .LBB18_2113
; %bb.2107:
	s_cmp_gt_i32 s16, 14
	s_mov_b64 s[6:7], -1
	s_cbranch_scc0 .LBB18_2111
; %bb.2108:
	s_cmp_eq_u32 s16, 15
	s_mov_b64 s[0:1], -1
	s_cbranch_scc0 .LBB18_2110
; %bb.2109:
	v_bfe_u32 v2, v6, 16, 1
	s_movk_i32 s0, 0x7fff
	v_add3_u32 v2, v6, v2, s0
	v_cmp_o_f32_e32 vcc, v6, v6
	v_mov_b32_e32 v3, 0x7fc0
	s_mov_b64 s[0:1], 0
	v_cndmask_b32_sdwa v2, v3, v2, vcc dst_sel:DWORD dst_unused:UNUSED_PAD src0_sel:DWORD src1_sel:WORD_1
	global_store_short v[0:1], v2, off
.LBB18_2110:
	s_mov_b64 s[6:7], 0
.LBB18_2111:
	s_and_b64 vcc, exec, s[6:7]
	s_cbranch_vccz .LBB18_2113
; %bb.2112:
	s_cmp_lg_u32 s16, 11
	s_mov_b64 s[4:5], -1
	s_cselect_b64 s[0:1], -1, 0
.LBB18_2113:
	s_and_b64 vcc, exec, s[0:1]
	s_cbranch_vccnz .LBB18_2135
.LBB18_2114:
	s_mov_b64 s[0:1], 0
	s_branch .LBB18_1716
.LBB18_2115:
	s_mov_b64 s[0:1], 0
                                        ; implicit-def: $sgpr20
                                        ; implicit-def: $vgpr0_vgpr1
	s_branch .LBB18_1715
.LBB18_2116:
	s_mov_b64 s[4:5], 0
	s_mov_b64 s[0:1], -1
	s_branch .LBB18_1716
.LBB18_2117:
	s_trap 2
	s_or_b64 s[14:15], s[14:15], exec
	s_cbranch_execz .LBB18_1572
	s_branch .LBB18_1573
.LBB18_2118:
	s_andn2_saveexec_b64 s[18:19], s[18:19]
	s_cbranch_execz .LBB18_1664
.LBB18_2119:
	s_mov_b32 s21, 0x46000000
	v_add_f32_e64 v1, |v0|, s21
	v_and_b32_e32 v1, 0xff, v1
	v_cmp_ne_u32_e32 vcc, 0, v1
	s_andn2_b64 s[16:17], s[16:17], exec
	s_and_b64 s[22:23], vcc, exec
	s_or_b64 s[16:17], s[16:17], s[22:23]
	s_or_b64 exec, exec, s[18:19]
	v_mov_b32_e32 v3, 0
	s_and_saveexec_b64 s[18:19], s[16:17]
	s_cbranch_execnz .LBB18_1665
	s_branch .LBB18_1666
.LBB18_2120:
	s_trap 2
	s_or_b64 s[14:15], s[14:15], exec
	s_cbranch_execz .LBB18_1712
	s_branch .LBB18_1713
.LBB18_2121:
	s_andn2_saveexec_b64 s[16:17], s[16:17]
	s_cbranch_execz .LBB18_1677
.LBB18_2122:
	s_mov_b32 s18, 0x42800000
	v_add_f32_e64 v1, |v0|, s18
	v_and_b32_e32 v1, 0xff, v1
	v_cmp_ne_u32_e32 vcc, 0, v1
	s_andn2_b64 s[10:11], s[10:11], exec
	s_and_b64 s[18:19], vcc, exec
	s_or_b64 s[10:11], s[10:11], s[18:19]
	s_or_b64 exec, exec, s[16:17]
	v_mov_b32_e32 v3, 0
	s_and_saveexec_b64 s[16:17], s[10:11]
	s_cbranch_execnz .LBB18_1678
	s_branch .LBB18_1679
.LBB18_2123:
	s_andn2_saveexec_b64 s[16:17], s[16:17]
	s_cbranch_execz .LBB18_1829
.LBB18_2124:
	s_mov_b32 s21, 0x46000000
	v_add_f32_e64 v1, |v2|, s21
	v_and_b32_e32 v1, 0xff, v1
	v_cmp_ne_u32_e32 vcc, 0, v1
	s_andn2_b64 s[10:11], s[10:11], exec
	s_and_b64 s[22:23], vcc, exec
	s_or_b64 s[10:11], s[10:11], s[22:23]
	s_or_b64 exec, exec, s[16:17]
	v_mov_b32_e32 v3, 0
	s_and_saveexec_b64 s[16:17], s[10:11]
	s_cbranch_execnz .LBB18_1830
	s_branch .LBB18_1831
.LBB18_2125:
	s_trap 2
	s_or_b64 s[14:15], s[14:15], exec
	s_cbranch_execz .LBB18_1877
	s_branch .LBB18_1878
.LBB18_2126:
	s_andn2_saveexec_b64 s[10:11], s[10:11]
	s_cbranch_execz .LBB18_1842
.LBB18_2127:
	s_mov_b32 s16, 0x42800000
	v_add_f32_e64 v1, |v2|, s16
	v_and_b32_e32 v1, 0xff, v1
	v_cmp_ne_u32_e32 vcc, 0, v1
	s_andn2_b64 s[8:9], s[8:9], exec
	s_and_b64 s[16:17], vcc, exec
	s_or_b64 s[8:9], s[8:9], s[16:17]
	s_or_b64 exec, exec, s[10:11]
	v_mov_b32_e32 v3, 0
	s_and_saveexec_b64 s[10:11], s[8:9]
	s_cbranch_execnz .LBB18_1843
	s_branch .LBB18_1844
.LBB18_2128:
	s_andn2_saveexec_b64 s[16:17], s[16:17]
	s_cbranch_execz .LBB18_1948
.LBB18_2129:
	s_mov_b32 s21, 0x46000000
	v_add_f32_e64 v1, |v4|, s21
	v_and_b32_e32 v1, 0xff, v1
	v_cmp_ne_u32_e32 vcc, 0, v1
	s_andn2_b64 s[10:11], s[10:11], exec
	s_and_b64 s[22:23], vcc, exec
	s_or_b64 s[10:11], s[10:11], s[22:23]
	s_or_b64 exec, exec, s[16:17]
	v_mov_b32_e32 v5, 0
	s_and_saveexec_b64 s[16:17], s[10:11]
	s_cbranch_execnz .LBB18_1949
	s_branch .LBB18_1950
.LBB18_2130:
	s_trap 2
	s_or_b64 s[14:15], s[14:15], exec
	s_cbranch_execz .LBB18_1996
	s_branch .LBB18_1997
.LBB18_2131:
	s_andn2_saveexec_b64 s[10:11], s[10:11]
	s_cbranch_execz .LBB18_1961
.LBB18_2132:
	s_mov_b32 s16, 0x42800000
	v_add_f32_e64 v1, |v4|, s16
	v_and_b32_e32 v1, 0xff, v1
	v_cmp_ne_u32_e32 vcc, 0, v1
	s_andn2_b64 s[8:9], s[8:9], exec
	s_and_b64 s[16:17], vcc, exec
	s_or_b64 s[8:9], s[8:9], s[16:17]
	s_or_b64 exec, exec, s[10:11]
	v_mov_b32_e32 v5, 0
	s_and_saveexec_b64 s[10:11], s[8:9]
	s_cbranch_execnz .LBB18_1962
	s_branch .LBB18_1963
.LBB18_2133:
	s_andn2_saveexec_b64 s[10:11], s[10:11]
	s_cbranch_execz .LBB18_2068
.LBB18_2134:
	s_mov_b32 s17, 0x46000000
	v_add_f32_e64 v2, |v6|, s17
	v_and_b32_e32 v2, 0xff, v2
	v_cmp_ne_u32_e32 vcc, 0, v2
	s_andn2_b64 s[8:9], s[8:9], exec
	s_and_b64 s[18:19], vcc, exec
	s_or_b64 s[8:9], s[8:9], s[18:19]
	s_or_b64 exec, exec, s[10:11]
	v_mov_b32_e32 v3, 0
	s_and_saveexec_b64 s[10:11], s[8:9]
	s_cbranch_execnz .LBB18_2069
	s_branch .LBB18_2070
.LBB18_2135:
	s_mov_b64 s[4:5], 0
	s_or_b64 s[14:15], s[14:15], exec
	s_trap 2
	s_branch .LBB18_2114
.LBB18_2136:
	s_andn2_saveexec_b64 s[8:9], s[8:9]
	s_cbranch_execz .LBB18_2080
.LBB18_2137:
	s_mov_b32 s10, 0x42800000
	v_add_f32_e64 v2, |v6|, s10
	v_and_b32_e32 v2, 0xff, v2
	v_cmp_ne_u32_e32 vcc, 0, v2
	s_andn2_b64 s[6:7], s[6:7], exec
	s_and_b64 s[10:11], vcc, exec
	s_or_b64 s[6:7], s[6:7], s[10:11]
	s_or_b64 exec, exec, s[8:9]
	v_mov_b32_e32 v3, 0
	s_and_saveexec_b64 s[8:9], s[6:7]
	s_cbranch_execnz .LBB18_2081
	s_branch .LBB18_2082
	.section	.rodata,"a",@progbits
	.p2align	6, 0x0
	.amdhsa_kernel _ZN2at6native32elementwise_kernel_manual_unrollILi128ELi4EZNS0_15gpu_kernel_implIZZZNS0_12_GLOBAL__N_130modified_bessel_i1_kernel_cudaERNS_18TensorIteratorBaseEENKUlvE_clEvENKUlvE0_clEvEUlfE_EEvS5_RKT_EUlibE_EEviT1_
		.amdhsa_group_segment_fixed_size 0
		.amdhsa_private_segment_fixed_size 0
		.amdhsa_kernarg_size 40
		.amdhsa_user_sgpr_count 2
		.amdhsa_user_sgpr_dispatch_ptr 0
		.amdhsa_user_sgpr_queue_ptr 0
		.amdhsa_user_sgpr_kernarg_segment_ptr 1
		.amdhsa_user_sgpr_dispatch_id 0
		.amdhsa_user_sgpr_kernarg_preload_length 0
		.amdhsa_user_sgpr_kernarg_preload_offset 0
		.amdhsa_user_sgpr_private_segment_size 0
		.amdhsa_uses_dynamic_stack 0
		.amdhsa_enable_private_segment 0
		.amdhsa_system_sgpr_workgroup_id_x 1
		.amdhsa_system_sgpr_workgroup_id_y 0
		.amdhsa_system_sgpr_workgroup_id_z 0
		.amdhsa_system_sgpr_workgroup_info 0
		.amdhsa_system_vgpr_workitem_id 0
		.amdhsa_next_free_vgpr 16
		.amdhsa_next_free_sgpr 44
		.amdhsa_accum_offset 16
		.amdhsa_reserve_vcc 1
		.amdhsa_float_round_mode_32 0
		.amdhsa_float_round_mode_16_64 0
		.amdhsa_float_denorm_mode_32 3
		.amdhsa_float_denorm_mode_16_64 3
		.amdhsa_dx10_clamp 1
		.amdhsa_ieee_mode 1
		.amdhsa_fp16_overflow 0
		.amdhsa_tg_split 0
		.amdhsa_exception_fp_ieee_invalid_op 0
		.amdhsa_exception_fp_denorm_src 0
		.amdhsa_exception_fp_ieee_div_zero 0
		.amdhsa_exception_fp_ieee_overflow 0
		.amdhsa_exception_fp_ieee_underflow 0
		.amdhsa_exception_fp_ieee_inexact 0
		.amdhsa_exception_int_div_zero 0
	.end_amdhsa_kernel
	.section	.text._ZN2at6native32elementwise_kernel_manual_unrollILi128ELi4EZNS0_15gpu_kernel_implIZZZNS0_12_GLOBAL__N_130modified_bessel_i1_kernel_cudaERNS_18TensorIteratorBaseEENKUlvE_clEvENKUlvE0_clEvEUlfE_EEvS5_RKT_EUlibE_EEviT1_,"axG",@progbits,_ZN2at6native32elementwise_kernel_manual_unrollILi128ELi4EZNS0_15gpu_kernel_implIZZZNS0_12_GLOBAL__N_130modified_bessel_i1_kernel_cudaERNS_18TensorIteratorBaseEENKUlvE_clEvENKUlvE0_clEvEUlfE_EEvS5_RKT_EUlibE_EEviT1_,comdat
.Lfunc_end18:
	.size	_ZN2at6native32elementwise_kernel_manual_unrollILi128ELi4EZNS0_15gpu_kernel_implIZZZNS0_12_GLOBAL__N_130modified_bessel_i1_kernel_cudaERNS_18TensorIteratorBaseEENKUlvE_clEvENKUlvE0_clEvEUlfE_EEvS5_RKT_EUlibE_EEviT1_, .Lfunc_end18-_ZN2at6native32elementwise_kernel_manual_unrollILi128ELi4EZNS0_15gpu_kernel_implIZZZNS0_12_GLOBAL__N_130modified_bessel_i1_kernel_cudaERNS_18TensorIteratorBaseEENKUlvE_clEvENKUlvE0_clEvEUlfE_EEvS5_RKT_EUlibE_EEviT1_
                                        ; -- End function
	.set _ZN2at6native32elementwise_kernel_manual_unrollILi128ELi4EZNS0_15gpu_kernel_implIZZZNS0_12_GLOBAL__N_130modified_bessel_i1_kernel_cudaERNS_18TensorIteratorBaseEENKUlvE_clEvENKUlvE0_clEvEUlfE_EEvS5_RKT_EUlibE_EEviT1_.num_vgpr, 16
	.set _ZN2at6native32elementwise_kernel_manual_unrollILi128ELi4EZNS0_15gpu_kernel_implIZZZNS0_12_GLOBAL__N_130modified_bessel_i1_kernel_cudaERNS_18TensorIteratorBaseEENKUlvE_clEvENKUlvE0_clEvEUlfE_EEvS5_RKT_EUlibE_EEviT1_.num_agpr, 0
	.set _ZN2at6native32elementwise_kernel_manual_unrollILi128ELi4EZNS0_15gpu_kernel_implIZZZNS0_12_GLOBAL__N_130modified_bessel_i1_kernel_cudaERNS_18TensorIteratorBaseEENKUlvE_clEvENKUlvE0_clEvEUlfE_EEvS5_RKT_EUlibE_EEviT1_.numbered_sgpr, 44
	.set _ZN2at6native32elementwise_kernel_manual_unrollILi128ELi4EZNS0_15gpu_kernel_implIZZZNS0_12_GLOBAL__N_130modified_bessel_i1_kernel_cudaERNS_18TensorIteratorBaseEENKUlvE_clEvENKUlvE0_clEvEUlfE_EEvS5_RKT_EUlibE_EEviT1_.num_named_barrier, 0
	.set _ZN2at6native32elementwise_kernel_manual_unrollILi128ELi4EZNS0_15gpu_kernel_implIZZZNS0_12_GLOBAL__N_130modified_bessel_i1_kernel_cudaERNS_18TensorIteratorBaseEENKUlvE_clEvENKUlvE0_clEvEUlfE_EEvS5_RKT_EUlibE_EEviT1_.private_seg_size, 0
	.set _ZN2at6native32elementwise_kernel_manual_unrollILi128ELi4EZNS0_15gpu_kernel_implIZZZNS0_12_GLOBAL__N_130modified_bessel_i1_kernel_cudaERNS_18TensorIteratorBaseEENKUlvE_clEvENKUlvE0_clEvEUlfE_EEvS5_RKT_EUlibE_EEviT1_.uses_vcc, 1
	.set _ZN2at6native32elementwise_kernel_manual_unrollILi128ELi4EZNS0_15gpu_kernel_implIZZZNS0_12_GLOBAL__N_130modified_bessel_i1_kernel_cudaERNS_18TensorIteratorBaseEENKUlvE_clEvENKUlvE0_clEvEUlfE_EEvS5_RKT_EUlibE_EEviT1_.uses_flat_scratch, 0
	.set _ZN2at6native32elementwise_kernel_manual_unrollILi128ELi4EZNS0_15gpu_kernel_implIZZZNS0_12_GLOBAL__N_130modified_bessel_i1_kernel_cudaERNS_18TensorIteratorBaseEENKUlvE_clEvENKUlvE0_clEvEUlfE_EEvS5_RKT_EUlibE_EEviT1_.has_dyn_sized_stack, 0
	.set _ZN2at6native32elementwise_kernel_manual_unrollILi128ELi4EZNS0_15gpu_kernel_implIZZZNS0_12_GLOBAL__N_130modified_bessel_i1_kernel_cudaERNS_18TensorIteratorBaseEENKUlvE_clEvENKUlvE0_clEvEUlfE_EEvS5_RKT_EUlibE_EEviT1_.has_recursion, 0
	.set _ZN2at6native32elementwise_kernel_manual_unrollILi128ELi4EZNS0_15gpu_kernel_implIZZZNS0_12_GLOBAL__N_130modified_bessel_i1_kernel_cudaERNS_18TensorIteratorBaseEENKUlvE_clEvENKUlvE0_clEvEUlfE_EEvS5_RKT_EUlibE_EEviT1_.has_indirect_call, 0
	.section	.AMDGPU.csdata,"",@progbits
; Kernel info:
; codeLenInByte = 46580
; TotalNumSgprs: 50
; NumVgprs: 16
; NumAgprs: 0
; TotalNumVgprs: 16
; ScratchSize: 0
; MemoryBound: 1
; FloatMode: 240
; IeeeMode: 1
; LDSByteSize: 0 bytes/workgroup (compile time only)
; SGPRBlocks: 6
; VGPRBlocks: 1
; NumSGPRsForWavesPerEU: 50
; NumVGPRsForWavesPerEU: 16
; AccumOffset: 16
; Occupancy: 8
; WaveLimiterHint : 0
; COMPUTE_PGM_RSRC2:SCRATCH_EN: 0
; COMPUTE_PGM_RSRC2:USER_SGPR: 2
; COMPUTE_PGM_RSRC2:TRAP_HANDLER: 0
; COMPUTE_PGM_RSRC2:TGID_X_EN: 1
; COMPUTE_PGM_RSRC2:TGID_Y_EN: 0
; COMPUTE_PGM_RSRC2:TGID_Z_EN: 0
; COMPUTE_PGM_RSRC2:TIDIG_COMP_CNT: 0
; COMPUTE_PGM_RSRC3_GFX90A:ACCUM_OFFSET: 3
; COMPUTE_PGM_RSRC3_GFX90A:TG_SPLIT: 0
	.section	.text._ZN2at6native32elementwise_kernel_manual_unrollILi128ELi4EZNS0_15gpu_kernel_implIZZZNS0_12_GLOBAL__N_130modified_bessel_i1_kernel_cudaERNS_18TensorIteratorBaseEENKUlvE_clEvENKUlvE0_clEvEUlfE_EEvS5_RKT_EUlibE0_EEviT1_,"axG",@progbits,_ZN2at6native32elementwise_kernel_manual_unrollILi128ELi4EZNS0_15gpu_kernel_implIZZZNS0_12_GLOBAL__N_130modified_bessel_i1_kernel_cudaERNS_18TensorIteratorBaseEENKUlvE_clEvENKUlvE0_clEvEUlfE_EEvS5_RKT_EUlibE0_EEviT1_,comdat
	.globl	_ZN2at6native32elementwise_kernel_manual_unrollILi128ELi4EZNS0_15gpu_kernel_implIZZZNS0_12_GLOBAL__N_130modified_bessel_i1_kernel_cudaERNS_18TensorIteratorBaseEENKUlvE_clEvENKUlvE0_clEvEUlfE_EEvS5_RKT_EUlibE0_EEviT1_ ; -- Begin function _ZN2at6native32elementwise_kernel_manual_unrollILi128ELi4EZNS0_15gpu_kernel_implIZZZNS0_12_GLOBAL__N_130modified_bessel_i1_kernel_cudaERNS_18TensorIteratorBaseEENKUlvE_clEvENKUlvE0_clEvEUlfE_EEvS5_RKT_EUlibE0_EEviT1_
	.p2align	8
	.type	_ZN2at6native32elementwise_kernel_manual_unrollILi128ELi4EZNS0_15gpu_kernel_implIZZZNS0_12_GLOBAL__N_130modified_bessel_i1_kernel_cudaERNS_18TensorIteratorBaseEENKUlvE_clEvENKUlvE0_clEvEUlfE_EEvS5_RKT_EUlibE0_EEviT1_,@function
_ZN2at6native32elementwise_kernel_manual_unrollILi128ELi4EZNS0_15gpu_kernel_implIZZZNS0_12_GLOBAL__N_130modified_bessel_i1_kernel_cudaERNS_18TensorIteratorBaseEENKUlvE_clEvENKUlvE0_clEvEUlfE_EEvS5_RKT_EUlibE0_EEviT1_: ; @_ZN2at6native32elementwise_kernel_manual_unrollILi128ELi4EZNS0_15gpu_kernel_implIZZZNS0_12_GLOBAL__N_130modified_bessel_i1_kernel_cudaERNS_18TensorIteratorBaseEENKUlvE_clEvENKUlvE0_clEvEUlfE_EEvS5_RKT_EUlibE0_EEviT1_
; %bb.0:
	s_load_dword s70, s[0:1], 0x0
	s_load_dword s33, s[0:1], 0x8
	s_add_u32 s34, s0, 8
	s_addc_u32 s35, s1, 0
	v_lshl_or_b32 v12, s2, 9, v0
	v_or_b32_e32 v16, 0x180, v12
	s_waitcnt lgkmcnt(0)
	s_add_i32 s72, s33, -1
	s_cmp_gt_u32 s72, 1
	v_cmp_le_i32_e32 vcc, s70, v16
	s_cselect_b64 s[42:43], -1, 0
	s_mov_b64 s[40:41], 0
	s_mov_b64 s[24:25], 0
	s_and_saveexec_b64 s[2:3], vcc
	s_xor_b64 s[44:45], exec, s[2:3]
	s_cbranch_execz .LBB19_1138
; %bb.1:
	v_mov_b32_e32 v0, 0
	global_load_ushort v0, v0, s[34:35] offset:345
	s_load_dwordx4 s[28:31], s[34:35], 0x4
	s_load_dwordx2 s[46:47], s[34:35], 0x14
	s_load_dwordx4 s[24:27], s[34:35], 0xc4
	s_load_dwordx4 s[20:23], s[34:35], 0x148
	s_cmp_lg_u32 s33, 0
	s_cselect_b64 s[52:53], -1, 0
	s_add_u32 s50, s34, 0xc4
	s_addc_u32 s51, s35, 0
	s_min_u32 s75, s72, 15
	s_cmp_gt_u32 s33, 1
	s_cselect_b64 s[48:49], -1, 0
	v_cmp_gt_i32_e32 vcc, s70, v12
	s_mov_b64 s[4:5], -1
	s_mov_b64 s[62:63], 0
	s_mov_b64 s[56:57], 0
	s_mov_b64 s[54:55], 0
	s_waitcnt vmcnt(0)
	v_readfirstlane_b32 s73, v0
	s_and_b32 s2, 0xffff, s73
	s_lshr_b32 s74, s2, 8
	s_and_saveexec_b64 s[58:59], vcc
	s_cbranch_execz .LBB19_279
; %bb.2:
	s_andn2_b64 vcc, exec, s[42:43]
	s_cbranch_vccnz .LBB19_8
; %bb.3:
	s_andn2_b64 vcc, exec, s[52:53]
	s_cbranch_vccnz .LBB19_9
; %bb.4:
	s_add_i32 s57, s75, 1
	s_cmp_eq_u32 s72, 2
	s_cbranch_scc1 .LBB19_10
; %bb.5:
	s_and_b32 s56, s57, 28
	s_mov_b32 s60, 0
	v_mov_b32_e32 v0, 0
	v_mov_b32_e32 v2, 0
	s_mov_b64 s[2:3], s[34:35]
	s_mov_b64 s[54:55], s[50:51]
	v_mov_b32_e32 v4, v12
.LBB19_6:                               ; =>This Inner Loop Header: Depth=1
	s_load_dwordx8 s[12:19], s[2:3], 0x4
	s_load_dwordx4 s[36:39], s[2:3], 0x24
	s_load_dwordx8 s[4:11], s[54:55], 0x0
	s_add_u32 s2, s2, 48
	s_addc_u32 s3, s3, 0
	s_waitcnt lgkmcnt(0)
	v_mul_hi_u32 v1, s13, v4
	v_add_u32_e32 v1, v4, v1
	v_lshrrev_b32_e32 v1, s14, v1
	v_mul_lo_u32 v3, v1, s12
	v_mul_hi_u32 v5, s16, v1
	v_sub_u32_e32 v3, v4, v3
	v_add_u32_e32 v4, v1, v5
	v_lshrrev_b32_e32 v4, s17, v4
	v_mul_lo_u32 v6, v4, s15
	v_mul_hi_u32 v7, s19, v4
	v_sub_u32_e32 v1, v1, v6
	v_add_u32_e32 v6, v4, v7
	v_mul_lo_u32 v5, v3, s5
	v_mul_lo_u32 v3, v3, s4
	;; [unrolled: 1-line block ×4, first 2 shown]
	v_lshrrev_b32_e32 v6, s36, v6
	v_add3_u32 v0, v3, v0, v1
	v_mul_hi_u32 v3, s38, v6
	v_add3_u32 v1, v5, v2, v7
	v_mul_lo_u32 v2, v6, s18
	v_add_u32_e32 v3, v6, v3
	v_sub_u32_e32 v2, v4, v2
	v_lshrrev_b32_e32 v4, s39, v3
	s_add_i32 s60, s60, 4
	v_mul_lo_u32 v3, v4, s37
	s_add_u32 s54, s54, 32
	v_sub_u32_e32 v3, v6, v3
	s_addc_u32 s55, s55, 0
	v_mul_lo_u32 v5, v2, s8
	v_mul_lo_u32 v2, v2, s9
	;; [unrolled: 1-line block ×4, first 2 shown]
	s_cmp_lg_u32 s56, s60
	v_add3_u32 v2, v2, v1, v3
	v_add3_u32 v0, v5, v0, v6
	s_cbranch_scc1 .LBB19_6
; %bb.7:
	v_mov_b32_e32 v1, v2
	s_branch .LBB19_11
.LBB19_8:
                                        ; implicit-def: $vgpr2
                                        ; implicit-def: $vgpr0
	s_branch .LBB19_15
.LBB19_9:
	v_mov_b32_e32 v2, 0
	v_mov_b32_e32 v0, 0
	s_branch .LBB19_14
.LBB19_10:
	v_mov_b32_e32 v0, 0
	s_mov_b32 s56, 0
	v_mov_b32_e32 v1, v0
                                        ; implicit-def: $vgpr2
	v_mov_b32_e32 v4, v12
.LBB19_11:
	s_and_b32 s6, s57, 3
	s_cmp_eq_u32 s6, 0
	s_cbranch_scc1 .LBB19_14
; %bb.12:
	s_lshl_b32 s2, s56, 3
	s_add_u32 s2, s34, s2
	s_addc_u32 s3, s35, 0
	s_add_u32 s2, s2, 0xc4
	s_addc_u32 s3, s3, 0
	s_mul_i32 s4, s56, 12
	s_add_u32 s4, s34, s4
	s_addc_u32 s5, s35, 0
.LBB19_13:                              ; =>This Inner Loop Header: Depth=1
	s_load_dwordx2 s[8:9], s[4:5], 0x4
	s_load_dword s7, s[4:5], 0xc
	s_load_dwordx2 s[10:11], s[2:3], 0x0
	v_mov_b32_e32 v2, v1
	s_add_u32 s4, s4, 12
	s_waitcnt lgkmcnt(0)
	v_mul_hi_u32 v1, s9, v4
	v_add_u32_e32 v1, v4, v1
	v_lshrrev_b32_e32 v1, s7, v1
	s_addc_u32 s5, s5, 0
	v_mul_lo_u32 v3, v1, s8
	s_add_u32 s2, s2, 8
	v_sub_u32_e32 v5, v4, v3
	s_addc_u32 s3, s3, 0
	s_add_i32 s6, s6, -1
	v_mov_b32_e32 v4, v1
	v_mad_u64_u32 v[2:3], s[8:9], v5, s11, v[2:3]
	v_mad_u64_u32 v[0:1], s[8:9], v5, s10, v[0:1]
	s_cmp_lg_u32 s6, 0
	v_mov_b32_e32 v1, v2
	s_cbranch_scc1 .LBB19_13
.LBB19_14:
	s_cbranch_execnz .LBB19_17
.LBB19_15:
	s_waitcnt lgkmcnt(0)
	v_mul_hi_u32 v0, s29, v12
	v_add_u32_e32 v0, v12, v0
	v_lshrrev_b32_e32 v1, s30, v0
	v_mul_lo_u32 v0, v1, s28
	v_sub_u32_e32 v0, v12, v0
	v_mul_lo_u32 v2, v0, s25
	s_andn2_b64 vcc, exec, s[48:49]
	v_mul_lo_u32 v0, v0, s24
	s_cbranch_vccnz .LBB19_17
; %bb.16:
	v_mul_hi_u32 v3, s46, v1
	v_add_u32_e32 v3, v1, v3
	v_lshrrev_b32_e32 v3, s47, v3
	v_mul_lo_u32 v3, v3, s31
	v_sub_u32_e32 v3, v1, v3
	v_mad_u64_u32 v[0:1], s[2:3], v3, s26, v[0:1]
	v_mad_u64_u32 v[2:3], s[2:3], v3, s27, v[2:3]
.LBB19_17:
	v_mov_b32_e32 v3, 0
	s_and_b32 s10, 0xffff, s74
	s_cmp_lt_i32 s10, 11
	s_waitcnt lgkmcnt(0)
	v_lshl_add_u64 v[2:3], s[22:23], 0, v[2:3]
	s_cbranch_scc1 .LBB19_24
; %bb.18:
	s_cmp_gt_i32 s10, 25
	s_cbranch_scc0 .LBB19_45
; %bb.19:
	s_cmp_gt_i32 s10, 28
	s_cbranch_scc0 .LBB19_48
	;; [unrolled: 3-line block ×4, first 2 shown]
; %bb.22:
	s_cmp_eq_u32 s10, 46
	s_mov_b64 s[6:7], 0
	s_cbranch_scc0 .LBB19_54
; %bb.23:
	global_load_dword v1, v[2:3], off
	s_mov_b64 s[2:3], -1
	s_mov_b64 s[4:5], 0
	s_waitcnt vmcnt(0)
	v_lshlrev_b32_e32 v1, 16, v1
	s_branch .LBB19_56
.LBB19_24:
	s_mov_b64 s[4:5], 0
                                        ; implicit-def: $vgpr1
	s_mov_b64 s[2:3], 0
	s_cbranch_execnz .LBB19_229
.LBB19_25:
	s_andn2_b64 vcc, exec, s[2:3]
	s_cbranch_vccnz .LBB19_276
.LBB19_26:
	s_mov_b32 s2, 0x41000000
	s_waitcnt vmcnt(0)
	v_cmp_le_f32_e64 s[2:3], |v1|, s2
                                        ; implicit-def: $vgpr2
	s_and_saveexec_b64 s[6:7], s[2:3]
	s_xor_b64 s[6:7], exec, s[6:7]
	s_cbranch_execz .LBB19_32
; %bb.27:
	v_fma_f32 v2, |v1|, 0.5, -2.0
	v_mov_b32_e32 v3, 0xa3c2be86
	v_fmac_f32_e32 v3, 0x224cf950, v2
	v_fmaak_f32 v4, v2, v3, 0xa24cf950
	v_add_f32_e32 v4, 0x25331f1f, v4
	v_fma_f32 v3, v2, v4, -v3
	v_add_f32_e32 v3, 0xa69f5554, v3
	v_fma_f32 v4, v2, v3, -v4
	v_add_f32_e32 v4, 0x2808ebf8, v4
	v_fma_f32 v3, v2, v4, -v3
	v_add_f32_e32 v3, 0xa9631471, v3
	v_fma_f32 v4, v2, v3, -v4
	v_add_f32_e32 v4, 0x2ab57bc2, v4
	v_fma_f32 v3, v2, v4, -v3
	v_add_f32_e32 v3, 0xac0b9c1b, v3
	v_fma_f32 v4, v2, v3, -v4
	v_add_f32_e32 v4, 0x2d4e7716, v4
	v_fma_f32 v3, v2, v4, -v3
	v_add_f32_e32 v3, 0xae92881d, v3
	v_fma_f32 v4, v2, v3, -v4
	v_add_f32_e32 v4, 0x2fc751a6, v4
	v_fma_f32 v3, v2, v4, -v3
	v_add_f32_e32 v3, 0xb101b0d9, v3
	v_fma_f32 v4, v2, v3, -v4
	v_add_f32_e32 v4, 0x32212c70, v4
	v_fma_f32 v3, v2, v4, -v3
	v_add_f32_e32 v3, 0xb33ee9f1, v3
	v_fma_f32 v4, v2, v3, -v4
	v_add_f32_e32 v4, 0x34571a26, v4
	v_fma_f32 v3, v2, v4, -v3
	v_add_f32_e32 v3, 0xb56603cc, v3
	v_fma_f32 v4, v2, v3, -v4
	v_add_f32_e32 v4, 0x3668e277, v4
	v_fma_f32 v3, v2, v4, -v3
	v_add_f32_e32 v3, 0xb75eafce, v3
	v_fma_f32 v4, v2, v3, -v4
	v_add_f32_e32 v4, 0x38488daa, v4
	v_fma_f32 v3, v2, v4, -v3
	v_add_f32_e32 v3, 0xb9299e57, v3
	v_fma_f32 v4, v2, v3, -v4
	v_add_f32_e32 v4, 0x3a064aee, v4
	v_fma_f32 v3, v2, v4, -v3
	v_add_f32_e32 v3, 0xbac66310, v3
	v_fma_f32 v4, v2, v3, -v4
	v_add_f32_e32 v4, 0x3b88329a, v4
	v_fma_f32 v3, v2, v4, -v3
	v_add_f32_e32 v3, 0xbc2d14fc, v3
	v_fma_f32 v4, v2, v3, -v4
	v_add_f32_e32 v4, 0x3cca8f1f, v4
	v_fma_f32 v3, v2, v4, -v3
	v_add_f32_e32 v3, 0xbd58dde3, v3
	v_fma_f32 v4, v2, v3, -v4
	v_add_f32_e32 v4, 0x3dd236d7, v4
	v_fma_f32 v3, v2, v4, -v3
	v_add_f32_e32 v3, 0xbe34a688, v3
	s_mov_b32 s2, 0x3fb8aa3b
	v_fma_f32 v2, v2, v3, -v4
	v_mul_f32_e64 v3, |v1|, s2
	v_rndne_f32_e32 v5, v3
	v_sub_f32_e32 v6, v3, v5
	v_fma_f32 v3, |v1|, s2, -v3
	s_mov_b32 s2, 0x32a5705f
	v_fma_f32 v3, |v1|, s2, v3
	v_add_f32_e32 v3, v6, v3
	v_exp_f32_e32 v6, v3
	v_cvt_i32_f32_e32 v5, v5
	v_add_f32_e32 v2, 0x3e81531c, v2
	v_sub_f32_e32 v2, v2, v4
	v_mul_f32_e32 v2, 0.5, v2
	s_mov_b32 s2, 0xc2ce8ed0
	v_mul_f32_e64 v3, |v1|, v2
	v_ldexp_f32 v2, v6, v5
	v_cmp_nlt_f32_e64 s[2:3], |v1|, s2
	v_mov_b32_e32 v4, 0x7f800000
	v_cmp_ngt_f32_e32 vcc, 0, v1
	v_cndmask_b32_e64 v2, 0, v2, s[2:3]
	s_mov_b32 s2, 0x42b17218
	v_cmp_ngt_f32_e64 s[2:3], |v1|, s2
	s_nop 1
	v_cndmask_b32_e64 v1, v4, v2, s[2:3]
                                        ; implicit-def: $vgpr2
	s_and_saveexec_b64 s[2:3], vcc
	s_xor_b64 s[2:3], exec, s[2:3]
; %bb.28:
	v_mul_f32_e32 v2, v1, v3
                                        ; implicit-def: $vgpr1
                                        ; implicit-def: $vgpr3
; %bb.29:
	s_andn2_saveexec_b64 s[2:3], s[2:3]
; %bb.30:
	v_mul_f32_e64 v2, v3, -v1
; %bb.31:
	s_or_b64 exec, exec, s[2:3]
                                        ; implicit-def: $vgpr1
.LBB19_32:
	s_andn2_saveexec_b64 s[6:7], s[6:7]
	s_cbranch_execz .LBB19_38
; %bb.33:
	v_and_b32_e32 v2, 0x7fffffff, v1
	s_mov_b32 s8, 0x42000000
	v_div_scale_f32 v3, s[2:3], v2, v2, s8
	v_rcp_f32_e32 v4, v3
	v_div_scale_f32 v2, vcc, s8, v2, s8
	s_mov_b32 s2, 0x3fb8aa3b
	v_fma_f32 v5, -v3, v4, 1.0
	v_fmac_f32_e32 v4, v5, v4
	v_mul_f32_e32 v5, v2, v4
	v_fma_f32 v6, -v3, v5, v2
	v_fmac_f32_e32 v5, v6, v4
	v_fma_f32 v2, -v3, v5, v2
	v_div_fmas_f32 v2, v2, v4, v5
	v_div_fixup_f32 v2, v2, |v1|, s8
	v_add_f32_e32 v2, -2.0, v2
	v_mov_b32_e32 v3, 0x22a2dc57
	v_fmac_f32_e32 v3, 0x230aab6e, v2
	v_fmaak_f32 v4, v2, v3, 0xa30aab6e
	v_add_f32_e32 v4, 0xa456751e, v4
	v_fma_f32 v3, v2, v4, -v3
	v_add_f32_e32 v3, 0xa4140365, v3
	v_fma_f32 v4, v2, v3, -v4
	v_add_f32_e32 v4, 0x25aac8b0, v4
	v_fma_f32 v3, v2, v4, -v3
	v_add_f32_e32 v3, 0x25beb473, v3
	v_fma_f32 v4, v2, v3, -v4
	v_add_f32_e32 v4, 0xa7077e6c, v4
	v_fma_f32 v3, v2, v4, -v3
	v_add_f32_e32 v3, 0xa7896da9, v3
	v_fma_f32 v4, v2, v3, -v4
	v_add_f32_e32 v4, 0x283bb70c, v4
	v_fma_f32 v3, v2, v4, -v3
	v_add_f32_e32 v3, 0x294069e1, v3
	v_fma_f32 v4, v2, v3, -v4
	v_add_f32_e32 v4, 0xa8bd4a41, v4
	v_fma_f32 v3, v2, v4, -v3
	v_add_f32_e32 v3, 0xaae5e22c, v3
	v_fma_f32 v4, v2, v3, -v4
	v_add_f32_e32 v4, 0xab4a9f08, v4
	v_fma_f32 v3, v2, v4, -v3
	v_add_f32_e32 v3, 0x2c0f3ea0, v3
	v_fma_f32 v4, v2, v3, -v4
	v_add_f32_e32 v4, 0x2d7880fb, v4
	v_fma_f32 v3, v2, v4, -v3
	v_add_f32_e32 v3, 0x2e0f0d10, v3
	v_fma_f32 v4, v2, v3, -v4
	v_add_f32_e32 v4, 0xada6e7cf, v4
	v_fma_f32 v3, v2, v4, -v3
	v_add_f32_e32 v3, 0xb019a653, v3
	v_fma_f32 v4, v2, v3, -v4
	v_add_f32_e32 v4, 0xb183c85d, v4
	v_fma_f32 v3, v2, v4, -v3
	v_add_f32_e32 v3, 0xb2e20a9d, v3
	v_mul_f32_e64 v5, |v1|, s2
	v_fma_f32 v4, v2, v3, -v4
	v_rndne_f32_e32 v6, v5
	v_add_f32_e32 v4, 0xb486dfe9, v4
	v_sub_f32_e32 v7, v5, v6
	v_fma_f32 v5, |v1|, s2, -v5
	s_mov_b32 s2, 0x32a5705f
	v_fma_f32 v3, v2, v4, -v3
	v_fma_f32 v5, |v1|, s2, v5
	v_add_f32_e32 v3, 0xb68246fa, v3
	v_add_f32_e32 v5, v7, v5
	v_fma_f32 v4, v2, v3, -v4
	v_exp_f32_e32 v5, v5
	v_cvt_i32_f32_e32 v6, v6
	v_add_f32_e32 v4, 0xb8e7ebfc, v4
	v_fma_f32 v3, v2, v4, -v3
	v_add_f32_e32 v3, 0xbc1fed03, v3
	s_mov_b32 s2, 0xc2ce8ed0
	v_fma_f32 v2, v2, v3, -v4
	v_ldexp_f32 v3, v5, v6
	v_cmp_nlt_f32_e64 s[2:3], |v1|, s2
	v_add_f32_e32 v2, 0x3f4750c6, v2
	v_mov_b32_e32 v5, 0x7f800000
	v_cndmask_b32_e64 v3, 0, v3, s[2:3]
	s_mov_b32 s2, 0x42b17218
	v_cmp_ngt_f32_e64 s[2:3], |v1|, s2
	v_cmp_ngt_f32_e32 vcc, 0, v1
	v_sub_f32_e32 v4, v2, v4
	v_cndmask_b32_e64 v3, v5, v3, s[2:3]
                                        ; implicit-def: $vgpr2
	s_and_saveexec_b64 s[2:3], vcc
	s_xor_b64 s[8:9], exec, s[2:3]
	s_cbranch_execz .LBB19_35
; %bb.34:
	s_mov_b32 s2, 0xf800000
	s_mov_b32 s3, 0x4f800000
	v_mul_f32_e64 v2, |v1|, s3
	v_cmp_lt_f32_e64 vcc, |v1|, s2
	v_mul_f32_e32 v4, 0.5, v4
	v_mul_f32_e32 v3, v3, v4
	v_cndmask_b32_e64 v1, |v1|, v2, vcc
	v_sqrt_f32_e32 v2, v1
	s_nop 0
	v_add_u32_e32 v4, -1, v2
	v_fma_f32 v5, -v4, v2, v1
	v_cmp_ge_f32_e64 s[2:3], 0, v5
	v_add_u32_e32 v5, 1, v2
	s_nop 0
	v_cndmask_b32_e64 v4, v2, v4, s[2:3]
	v_fma_f32 v2, -v5, v2, v1
	v_cmp_lt_f32_e64 s[2:3], 0, v2
	s_nop 1
	v_cndmask_b32_e64 v2, v4, v5, s[2:3]
	v_mul_f32_e32 v4, 0x37800000, v2
	v_cndmask_b32_e32 v2, v2, v4, vcc
	v_mov_b32_e32 v4, 0x260
	v_cmp_class_f32_e32 vcc, v1, v4
	s_nop 1
	v_cndmask_b32_e32 v1, v2, v1, vcc
	v_div_scale_f32 v2, s[2:3], v1, v1, v3
	v_rcp_f32_e32 v4, v2
	s_nop 0
	v_fma_f32 v5, -v2, v4, 1.0
	v_fmac_f32_e32 v4, v5, v4
	v_div_scale_f32 v5, vcc, v3, v1, v3
	v_mul_f32_e32 v6, v5, v4
	v_fma_f32 v7, -v2, v6, v5
	v_fmac_f32_e32 v6, v7, v4
	v_fma_f32 v2, -v2, v6, v5
	v_div_fmas_f32 v2, v2, v4, v6
	v_div_fixup_f32 v2, v2, v1, v3
                                        ; implicit-def: $vgpr1
                                        ; implicit-def: $vgpr4
                                        ; implicit-def: $vgpr3
.LBB19_35:
	s_andn2_saveexec_b64 s[8:9], s[8:9]
	s_cbranch_execz .LBB19_37
; %bb.36:
	s_mov_b32 s2, 0xf800000
	s_mov_b32 s3, 0x4f800000
	v_mul_f32_e64 v2, |v1|, s3
	v_cmp_lt_f32_e64 vcc, |v1|, s2
	s_nop 1
	v_cndmask_b32_e64 v1, |v1|, v2, vcc
	v_sqrt_f32_e32 v2, v1
	s_nop 0
	v_add_u32_e32 v5, -1, v2
	v_fma_f32 v6, -v5, v2, v1
	v_cmp_ge_f32_e64 s[2:3], 0, v6
	v_add_u32_e32 v6, 1, v2
	s_nop 0
	v_cndmask_b32_e64 v5, v2, v5, s[2:3]
	v_fma_f32 v2, -v6, v2, v1
	v_cmp_lt_f32_e64 s[2:3], 0, v2
	s_nop 1
	v_cndmask_b32_e64 v2, v5, v6, s[2:3]
	v_mul_f32_e32 v5, 0x37800000, v2
	v_cndmask_b32_e32 v2, v2, v5, vcc
	v_mov_b32_e32 v5, 0x260
	v_cmp_class_f32_e32 vcc, v1, v5
	s_nop 1
	v_cndmask_b32_e32 v1, v2, v1, vcc
	v_mul_f32_e32 v2, -0.5, v4
	v_mul_f32_e32 v2, v3, v2
	v_div_scale_f32 v3, s[2:3], v1, v1, v2
	v_rcp_f32_e32 v4, v3
	s_nop 0
	v_fma_f32 v5, -v3, v4, 1.0
	v_fmac_f32_e32 v4, v5, v4
	v_div_scale_f32 v5, vcc, v2, v1, v2
	v_mul_f32_e32 v6, v5, v4
	v_fma_f32 v7, -v3, v6, v5
	v_fmac_f32_e32 v6, v7, v4
	v_fma_f32 v3, -v3, v6, v5
	v_div_fmas_f32 v3, v3, v4, v6
	v_div_fixup_f32 v2, v3, v1, v2
.LBB19_37:
	s_or_b64 exec, exec, s[8:9]
.LBB19_38:
	s_or_b64 exec, exec, s[6:7]
	v_mov_b32_e32 v1, 0
	s_and_b32 s12, s73, 0xff
	s_cmp_lt_i32 s12, 11
	v_lshl_add_u64 v[0:1], s[20:21], 0, v[0:1]
	s_cbranch_scc1 .LBB19_46
; %bb.39:
	s_and_b32 s13, 0xffff, s12
	s_cmp_gt_i32 s13, 25
	s_cbranch_scc0 .LBB19_49
; %bb.40:
	s_cmp_gt_i32 s13, 28
	s_cbranch_scc0 .LBB19_51
; %bb.41:
	s_cmp_gt_i32 s13, 43
	s_cbranch_scc0 .LBB19_53
; %bb.42:
	s_cmp_gt_i32 s13, 45
	s_cbranch_scc0 .LBB19_59
; %bb.43:
	s_mov_b64 s[8:9], 0
	s_mov_b64 s[2:3], -1
	s_cmp_eq_u32 s13, 46
	s_mov_b64 s[6:7], 0
	s_cbranch_scc0 .LBB19_60
; %bb.44:
	v_bfe_u32 v3, v2, 16, 1
	s_movk_i32 s2, 0x7fff
	v_add3_u32 v3, v2, v3, s2
	v_cmp_o_f32_e32 vcc, v2, v2
	v_mov_b32_e32 v4, 0x7fc0
	s_mov_b64 s[6:7], -1
	v_cndmask_b32_sdwa v3, v4, v3, vcc dst_sel:DWORD dst_unused:UNUSED_PAD src0_sel:DWORD src1_sel:WORD_1
	global_store_dword v[0:1], v3, off
	s_mov_b64 s[2:3], 0
	s_branch .LBB19_60
.LBB19_45:
	s_mov_b64 s[4:5], 0
	s_mov_b64 s[2:3], 0
                                        ; implicit-def: $vgpr1
	s_cbranch_execnz .LBB19_194
	s_branch .LBB19_228
.LBB19_46:
	s_mov_b64 s[2:3], 0
	s_mov_b64 s[6:7], 0
	s_cbranch_execnz .LBB19_129
.LBB19_47:
	s_andn2_b64 vcc, exec, s[6:7]
	s_cbranch_vccnz .LBB19_277
	s_branch .LBB19_167
.LBB19_48:
	s_mov_b64 s[6:7], -1
	s_mov_b64 s[4:5], 0
	s_mov_b64 s[2:3], 0
                                        ; implicit-def: $vgpr1
	s_branch .LBB19_175
.LBB19_49:
	s_mov_b64 s[8:9], -1
	s_mov_b64 s[2:3], 0
	s_mov_b64 s[6:7], 0
	s_branch .LBB19_87
.LBB19_50:
	s_mov_b64 s[6:7], -1
	s_mov_b64 s[4:5], 0
	s_mov_b64 s[2:3], 0
                                        ; implicit-def: $vgpr1
	s_branch .LBB19_170
.LBB19_51:
	s_mov_b64 s[8:9], -1
	s_mov_b64 s[2:3], 0
	s_mov_b64 s[6:7], 0
	s_branch .LBB19_70
.LBB19_52:
	s_mov_b64 s[6:7], -1
	s_mov_b64 s[4:5], 0
	s_branch .LBB19_55
.LBB19_53:
	s_mov_b64 s[8:9], -1
	s_mov_b64 s[2:3], 0
	s_mov_b64 s[6:7], 0
	s_branch .LBB19_66
.LBB19_54:
	s_mov_b64 s[4:5], -1
.LBB19_55:
	s_mov_b64 s[2:3], 0
                                        ; implicit-def: $vgpr1
.LBB19_56:
	s_and_b64 vcc, exec, s[6:7]
	s_cbranch_vccz .LBB19_169
; %bb.57:
	s_cmp_eq_u32 s10, 44
	s_cbranch_scc0 .LBB19_168
; %bb.58:
	global_load_ubyte v1, v[2:3], off
	s_movk_i32 s4, 0xff
	v_mov_b32_e32 v4, 0x7f800001
	v_mov_b32_e32 v5, 0x400000
	s_mov_b64 s[2:3], -1
	s_waitcnt vmcnt(0)
	v_lshlrev_b32_e32 v6, 23, v1
	v_cmp_ne_u32_e32 vcc, s4, v1
	s_mov_b64 s[4:5], 0
	s_nop 0
	v_cndmask_b32_e32 v4, v4, v6, vcc
	v_cmp_ne_u32_e32 vcc, 0, v1
	s_nop 1
	v_cndmask_b32_e32 v1, v5, v4, vcc
	s_branch .LBB19_169
.LBB19_59:
	s_mov_b64 s[8:9], -1
	s_mov_b64 s[2:3], 0
	s_mov_b64 s[6:7], 0
.LBB19_60:
	s_and_b64 vcc, exec, s[8:9]
	s_cbranch_vccz .LBB19_65
; %bb.61:
	s_cmp_eq_u32 s13, 44
	s_mov_b64 s[2:3], -1
	s_cbranch_scc0 .LBB19_65
; %bb.62:
	v_bfe_u32 v3, v2, 23, 8
	s_movk_i32 s2, 0xff
	v_cmp_ne_u32_e32 vcc, s2, v3
	v_mov_b32_e32 v4, 0xff
	s_and_saveexec_b64 s[6:7], vcc
; %bb.63:
	s_mov_b32 s2, 0x3fffff
	v_and_b32_e32 v5, 0x400000, v2
	v_and_or_b32 v3, v2, s2, v3
	v_cmp_ne_u32_e32 vcc, 0, v5
	v_cmp_ne_u32_e64 s[2:3], 0, v3
	s_and_b64 s[2:3], vcc, s[2:3]
	v_lshrrev_b32_e32 v4, 23, v2
	v_cndmask_b32_e64 v3, 0, 1, s[2:3]
	v_add_u32_e32 v4, v4, v3
; %bb.64:
	s_or_b64 exec, exec, s[6:7]
	s_mov_b64 s[6:7], -1
	s_mov_b64 s[2:3], 0
	global_store_byte v[0:1], v4, off
.LBB19_65:
	s_mov_b64 s[8:9], 0
.LBB19_66:
	s_and_b64 vcc, exec, s[8:9]
	s_cbranch_vccz .LBB19_69
; %bb.67:
	s_cmp_eq_u32 s13, 29
	s_mov_b64 s[2:3], -1
	s_cbranch_scc0 .LBB19_69
; %bb.68:
	v_trunc_f32_e32 v3, v2
	v_mul_f32_e32 v4, 0x2f800000, v3
	v_floor_f32_e32 v4, v4
	v_fmamk_f32 v3, v4, 0xcf800000, v3
	v_cvt_u32_f32_e32 v5, v4
	v_cvt_u32_f32_e32 v4, v3
	s_mov_b64 s[6:7], -1
	s_mov_b64 s[2:3], 0
	s_mov_b64 s[8:9], 0
	global_store_dwordx2 v[0:1], v[4:5], off
	s_branch .LBB19_70
.LBB19_69:
	s_mov_b64 s[8:9], 0
.LBB19_70:
	s_and_b64 vcc, exec, s[8:9]
	s_cbranch_vccz .LBB19_86
; %bb.71:
	s_cmp_lt_i32 s13, 27
	s_mov_b64 s[6:7], -1
	s_cbranch_scc1 .LBB19_77
; %bb.72:
	v_cvt_u32_f32_e32 v3, v2
	s_cmp_gt_i32 s13, 27
	s_cbranch_scc0 .LBB19_74
; %bb.73:
	s_mov_b64 s[6:7], 0
	global_store_dword v[0:1], v3, off
.LBB19_74:
	s_andn2_b64 vcc, exec, s[6:7]
	s_cbranch_vccnz .LBB19_76
; %bb.75:
	global_store_short v[0:1], v3, off
.LBB19_76:
	s_mov_b64 s[6:7], 0
.LBB19_77:
	s_andn2_b64 vcc, exec, s[6:7]
	s_cbranch_vccnz .LBB19_85
; %bb.78:
	v_and_b32_e32 v3, 0x7fffffff, v2
	s_mov_b32 s6, 0x43800000
	v_cmp_gt_u32_e32 vcc, s6, v3
	v_mov_b32_e32 v4, 0x80
	s_and_saveexec_b64 s[6:7], vcc
	s_cbranch_execz .LBB19_84
; %bb.79:
	s_mov_b32 s8, 0x3bffffff
	v_cmp_lt_u32_e32 vcc, s8, v3
	s_mov_b64 s[8:9], 0
                                        ; implicit-def: $vgpr3
	s_and_saveexec_b64 s[10:11], vcc
	s_xor_b64 s[10:11], exec, s[10:11]
	s_cbranch_execz .LBB19_333
; %bb.80:
	v_bfe_u32 v3, v2, 20, 1
	s_mov_b32 s14, 0x487ffff
	v_add3_u32 v3, v2, v3, s14
	s_mov_b64 s[8:9], exec
	v_lshrrev_b32_e32 v3, 20, v3
	s_andn2_saveexec_b64 s[10:11], s[10:11]
	s_cbranch_execnz .LBB19_334
.LBB19_81:
	s_or_b64 exec, exec, s[10:11]
	v_mov_b32_e32 v4, 0
	s_and_saveexec_b64 s[10:11], s[8:9]
.LBB19_82:
	v_lshrrev_b32_e32 v4, 24, v2
	s_movk_i32 s8, 0x80
	v_and_or_b32 v4, v4, s8, v3
.LBB19_83:
	s_or_b64 exec, exec, s[10:11]
.LBB19_84:
	s_or_b64 exec, exec, s[6:7]
	global_store_byte v[0:1], v4, off
.LBB19_85:
	s_mov_b64 s[6:7], -1
.LBB19_86:
	s_mov_b64 s[8:9], 0
.LBB19_87:
	s_and_b64 vcc, exec, s[8:9]
	s_cbranch_vccz .LBB19_128
; %bb.88:
	s_cmp_gt_i32 s13, 22
	s_mov_b64 s[8:9], -1
	s_cbranch_scc0 .LBB19_120
; %bb.89:
	s_cmp_lt_i32 s13, 24
	s_mov_b64 s[6:7], -1
	s_cbranch_scc1 .LBB19_109
; %bb.90:
	s_cmp_gt_i32 s13, 24
	s_cbranch_scc0 .LBB19_98
; %bb.91:
	v_and_b32_e32 v3, 0x7fffffff, v2
	s_mov_b32 s6, 0x47800000
	v_cmp_gt_u32_e32 vcc, s6, v3
	v_mov_b32_e32 v4, 0x80
	s_and_saveexec_b64 s[6:7], vcc
	s_cbranch_execz .LBB19_97
; %bb.92:
	s_mov_b32 s8, 0x37ffffff
	v_cmp_lt_u32_e32 vcc, s8, v3
	s_mov_b64 s[8:9], 0
                                        ; implicit-def: $vgpr3
	s_and_saveexec_b64 s[10:11], vcc
	s_xor_b64 s[10:11], exec, s[10:11]
	s_cbranch_execz .LBB19_337
; %bb.93:
	v_bfe_u32 v3, v2, 21, 1
	s_mov_b32 s14, 0x88fffff
	v_add3_u32 v3, v2, v3, s14
	s_mov_b64 s[8:9], exec
	v_lshrrev_b32_e32 v3, 21, v3
	s_andn2_saveexec_b64 s[10:11], s[10:11]
	s_cbranch_execnz .LBB19_338
.LBB19_94:
	s_or_b64 exec, exec, s[10:11]
	v_mov_b32_e32 v4, 0
	s_and_saveexec_b64 s[10:11], s[8:9]
.LBB19_95:
	v_lshrrev_b32_e32 v4, 24, v2
	s_movk_i32 s8, 0x80
	v_and_or_b32 v4, v4, s8, v3
.LBB19_96:
	s_or_b64 exec, exec, s[10:11]
.LBB19_97:
	s_or_b64 exec, exec, s[6:7]
	s_mov_b64 s[6:7], 0
	global_store_byte v[0:1], v4, off
.LBB19_98:
	s_and_b64 vcc, exec, s[6:7]
	s_cbranch_vccz .LBB19_108
; %bb.99:
	v_and_b32_e32 v4, 0x7fffffff, v2
	s_mov_b32 s6, 0x43f00000
	v_cmp_gt_u32_e32 vcc, s6, v4
                                        ; implicit-def: $vgpr3
	s_and_saveexec_b64 s[6:7], vcc
	s_xor_b64 s[6:7], exec, s[6:7]
	s_cbranch_execz .LBB19_105
; %bb.100:
	s_mov_b32 s8, 0x3c7fffff
	v_cmp_lt_u32_e32 vcc, s8, v4
                                        ; implicit-def: $vgpr3
	s_and_saveexec_b64 s[8:9], vcc
	s_xor_b64 s[8:9], exec, s[8:9]
; %bb.101:
	v_bfe_u32 v3, v2, 20, 1
	s_mov_b32 s10, 0x407ffff
	v_add3_u32 v3, v2, v3, s10
	v_lshrrev_b32_e32 v4, 20, v3
	v_and_b32_e32 v3, 0xff00000, v3
	s_mov_b32 s10, 0x7f00000
	v_mov_b32_e32 v5, 0x7e
	v_cmp_ne_u32_e32 vcc, s10, v3
	s_nop 1
	v_cndmask_b32_e32 v3, v5, v4, vcc
; %bb.102:
	s_andn2_saveexec_b64 s[8:9], s[8:9]
; %bb.103:
	s_mov_b32 s10, 0x46800000
	v_add_f32_e64 v3, |v2|, s10
; %bb.104:
	s_or_b64 exec, exec, s[8:9]
                                        ; implicit-def: $vgpr4
.LBB19_105:
	s_andn2_saveexec_b64 s[6:7], s[6:7]
; %bb.106:
	s_mov_b32 s8, 0x7f800000
	v_mov_b32_e32 v3, 0x7e
	v_mov_b32_e32 v5, 0x7f
	v_cmp_lt_u32_e32 vcc, s8, v4
	s_nop 1
	v_cndmask_b32_e32 v3, v3, v5, vcc
; %bb.107:
	s_or_b64 exec, exec, s[6:7]
	v_lshrrev_b32_e32 v4, 24, v2
	s_movk_i32 s6, 0x80
	v_and_or_b32 v3, v4, s6, v3
	global_store_byte v[0:1], v3, off
.LBB19_108:
	s_mov_b64 s[6:7], 0
.LBB19_109:
	s_andn2_b64 vcc, exec, s[6:7]
	s_cbranch_vccnz .LBB19_119
; %bb.110:
	v_and_b32_e32 v4, 0x7fffffff, v2
	s_mov_b32 s6, 0x47800000
	v_cmp_gt_u32_e32 vcc, s6, v4
                                        ; implicit-def: $vgpr3
	s_and_saveexec_b64 s[6:7], vcc
	s_xor_b64 s[6:7], exec, s[6:7]
	s_cbranch_execz .LBB19_116
; %bb.111:
	s_mov_b32 s8, 0x387fffff
	v_cmp_lt_u32_e32 vcc, s8, v4
                                        ; implicit-def: $vgpr3
	s_and_saveexec_b64 s[8:9], vcc
	s_xor_b64 s[8:9], exec, s[8:9]
; %bb.112:
	v_bfe_u32 v3, v2, 21, 1
	s_mov_b32 s10, 0x80fffff
	v_add3_u32 v3, v2, v3, s10
	v_lshrrev_b32_e32 v3, 21, v3
; %bb.113:
	s_andn2_saveexec_b64 s[8:9], s[8:9]
; %bb.114:
	s_mov_b32 s10, 0x43000000
	v_add_f32_e64 v3, |v2|, s10
; %bb.115:
	s_or_b64 exec, exec, s[8:9]
                                        ; implicit-def: $vgpr4
.LBB19_116:
	s_andn2_saveexec_b64 s[6:7], s[6:7]
; %bb.117:
	s_mov_b32 s8, 0x7f800000
	v_mov_b32_e32 v3, 0x7c
	v_mov_b32_e32 v5, 0x7f
	v_cmp_lt_u32_e32 vcc, s8, v4
	s_nop 1
	v_cndmask_b32_e32 v3, v3, v5, vcc
; %bb.118:
	s_or_b64 exec, exec, s[6:7]
	v_lshrrev_b32_e32 v4, 24, v2
	s_movk_i32 s6, 0x80
	v_and_or_b32 v3, v4, s6, v3
	global_store_byte v[0:1], v3, off
.LBB19_119:
	s_mov_b64 s[8:9], 0
	s_mov_b64 s[6:7], -1
.LBB19_120:
	s_andn2_b64 vcc, exec, s[8:9]
	s_cbranch_vccnz .LBB19_128
; %bb.121:
	s_cmp_gt_i32 s13, 14
	s_mov_b64 s[8:9], -1
	s_cbranch_scc0 .LBB19_125
; %bb.122:
	s_cmp_eq_u32 s13, 15
	s_mov_b64 s[2:3], -1
	s_cbranch_scc0 .LBB19_124
; %bb.123:
	v_bfe_u32 v3, v2, 16, 1
	s_movk_i32 s2, 0x7fff
	v_add3_u32 v3, v2, v3, s2
	v_cmp_o_f32_e32 vcc, v2, v2
	v_mov_b32_e32 v4, 0x7fc0
	s_mov_b64 s[6:7], -1
	v_cndmask_b32_sdwa v3, v4, v3, vcc dst_sel:DWORD dst_unused:UNUSED_PAD src0_sel:DWORD src1_sel:WORD_1
	global_store_short v[0:1], v3, off
	s_mov_b64 s[2:3], 0
.LBB19_124:
	s_mov_b64 s[8:9], 0
.LBB19_125:
	s_and_b64 vcc, exec, s[8:9]
	s_cbranch_vccz .LBB19_128
; %bb.126:
	s_cmp_eq_u32 s13, 11
	s_mov_b64 s[2:3], -1
	s_cbranch_scc0 .LBB19_128
; %bb.127:
	v_cmp_neq_f32_e32 vcc, 0, v2
	s_mov_b64 s[6:7], -1
	s_mov_b64 s[2:3], 0
	v_cndmask_b32_e64 v3, 0, 1, vcc
	global_store_byte v[0:1], v3, off
.LBB19_128:
	s_branch .LBB19_47
.LBB19_129:
	s_and_b32 s8, 0xffff, s12
	s_cmp_lt_i32 s8, 5
	s_mov_b64 s[6:7], -1
	s_cbranch_scc1 .LBB19_150
; %bb.130:
	s_cmp_lt_i32 s8, 8
	s_cbranch_scc1 .LBB19_140
; %bb.131:
	s_cmp_lt_i32 s8, 9
	s_cbranch_scc1 .LBB19_137
; %bb.132:
	s_cmp_gt_i32 s8, 9
	s_cbranch_scc0 .LBB19_134
; %bb.133:
	v_mov_b32_e32 v6, 0
	v_cvt_f64_f32_e32 v[4:5], v2
	v_mov_b32_e32 v7, v6
	global_store_dwordx4 v[0:1], v[4:7], off
	s_mov_b64 s[6:7], 0
.LBB19_134:
	s_andn2_b64 vcc, exec, s[6:7]
	s_cbranch_vccnz .LBB19_136
; %bb.135:
	v_mov_b32_e32 v3, 0
	global_store_dwordx2 v[0:1], v[2:3], off
.LBB19_136:
	s_mov_b64 s[6:7], 0
.LBB19_137:
	s_andn2_b64 vcc, exec, s[6:7]
	s_cbranch_vccnz .LBB19_139
; %bb.138:
	v_cvt_f16_f32_e32 v3, v2
	global_store_dword v[0:1], v3, off
.LBB19_139:
	s_mov_b64 s[6:7], 0
.LBB19_140:
	s_andn2_b64 vcc, exec, s[6:7]
	s_cbranch_vccnz .LBB19_149
; %bb.141:
	s_cmp_lt_i32 s8, 6
	s_mov_b64 s[6:7], -1
	s_cbranch_scc1 .LBB19_147
; %bb.142:
	s_cmp_gt_i32 s8, 6
	s_cbranch_scc0 .LBB19_144
; %bb.143:
	v_cvt_f64_f32_e32 v[4:5], v2
	global_store_dwordx2 v[0:1], v[4:5], off
	s_mov_b64 s[6:7], 0
.LBB19_144:
	s_andn2_b64 vcc, exec, s[6:7]
	s_cbranch_vccnz .LBB19_146
; %bb.145:
	global_store_dword v[0:1], v2, off
.LBB19_146:
	s_mov_b64 s[6:7], 0
.LBB19_147:
	s_andn2_b64 vcc, exec, s[6:7]
	s_cbranch_vccnz .LBB19_149
; %bb.148:
	v_cvt_f16_f32_e32 v3, v2
	global_store_short v[0:1], v3, off
.LBB19_149:
	s_mov_b64 s[6:7], 0
.LBB19_150:
	s_andn2_b64 vcc, exec, s[6:7]
	s_cbranch_vccnz .LBB19_166
; %bb.151:
	s_cmp_lt_i32 s8, 2
	s_mov_b64 s[6:7], -1
	s_cbranch_scc1 .LBB19_161
; %bb.152:
	s_cmp_lt_i32 s8, 3
	s_cbranch_scc1 .LBB19_158
; %bb.153:
	s_cmp_gt_i32 s8, 3
	s_cbranch_scc0 .LBB19_155
; %bb.154:
	v_trunc_f32_e32 v3, v2
	s_mov_b32 s6, 0x2f800000
	v_mul_f32_e64 v4, |v3|, s6
	v_floor_f32_e32 v4, v4
	s_mov_b32 s6, 0xcf800000
	v_cvt_u32_f32_e32 v5, v4
	v_fma_f32 v4, v4, s6, |v3|
	v_cvt_u32_f32_e32 v4, v4
	v_ashrrev_i32_e32 v3, 31, v3
	v_xor_b32_e32 v5, v5, v3
	s_mov_b64 s[6:7], 0
	v_xor_b32_e32 v4, v4, v3
	v_sub_co_u32_e32 v4, vcc, v4, v3
	s_nop 1
	v_subb_co_u32_e32 v5, vcc, v5, v3, vcc
	global_store_dwordx2 v[0:1], v[4:5], off
.LBB19_155:
	s_andn2_b64 vcc, exec, s[6:7]
	s_cbranch_vccnz .LBB19_157
; %bb.156:
	v_cvt_i32_f32_e32 v3, v2
	global_store_dword v[0:1], v3, off
.LBB19_157:
	s_mov_b64 s[6:7], 0
.LBB19_158:
	s_andn2_b64 vcc, exec, s[6:7]
	s_cbranch_vccnz .LBB19_160
; %bb.159:
	v_cvt_i32_f32_e32 v3, v2
	global_store_short v[0:1], v3, off
.LBB19_160:
	s_mov_b64 s[6:7], 0
.LBB19_161:
	s_andn2_b64 vcc, exec, s[6:7]
	s_cbranch_vccnz .LBB19_166
; %bb.162:
	s_cmp_gt_i32 s8, 0
	s_mov_b64 s[6:7], -1
	s_cbranch_scc0 .LBB19_164
; %bb.163:
	v_cvt_i32_f32_e32 v3, v2
	s_mov_b64 s[6:7], 0
	global_store_byte v[0:1], v3, off
.LBB19_164:
	s_andn2_b64 vcc, exec, s[6:7]
	s_cbranch_vccnz .LBB19_166
; %bb.165:
	v_trunc_f32_e32 v2, v2
	s_mov_b32 s6, 0x2f800000
	v_mul_f32_e64 v3, |v2|, s6
	v_floor_f32_e32 v3, v3
	s_mov_b32 s6, 0xcf800000
	v_fma_f32 v3, v3, s6, |v2|
	v_cvt_u32_f32_e32 v3, v3
	v_ashrrev_i32_e32 v2, 31, v2
	v_xor_b32_e32 v3, v3, v2
	v_sub_u32_e32 v2, v3, v2
	global_store_byte v[0:1], v2, off
.LBB19_166:
.LBB19_167:
	v_add_u32_e32 v12, 0x80, v12
	s_mov_b64 s[6:7], -1
	s_branch .LBB19_278
.LBB19_168:
	s_mov_b64 s[4:5], -1
                                        ; implicit-def: $vgpr1
.LBB19_169:
	s_mov_b64 s[6:7], 0
.LBB19_170:
	s_and_b64 vcc, exec, s[6:7]
	s_cbranch_vccz .LBB19_174
; %bb.171:
	s_cmp_eq_u32 s10, 29
	s_cbranch_scc0 .LBB19_173
; %bb.172:
	global_load_dwordx2 v[4:5], v[2:3], off
	s_mov_b64 s[2:3], -1
	s_mov_b64 s[4:5], 0
	s_mov_b64 s[6:7], 0
	s_waitcnt vmcnt(0)
	v_ffbh_u32_e32 v1, v5
	v_min_u32_e32 v1, 32, v1
	v_lshlrev_b64 v[4:5], v1, v[4:5]
	v_min_u32_e32 v4, 1, v4
	v_or_b32_e32 v4, v5, v4
	v_cvt_f32_u32_e32 v4, v4
	v_sub_u32_e32 v1, 32, v1
	v_ldexp_f32 v1, v4, v1
	s_branch .LBB19_175
.LBB19_173:
	s_mov_b64 s[4:5], -1
                                        ; implicit-def: $vgpr1
.LBB19_174:
	s_mov_b64 s[6:7], 0
.LBB19_175:
	s_and_b64 vcc, exec, s[6:7]
	s_cbranch_vccz .LBB19_193
; %bb.176:
	s_cmp_lt_i32 s10, 27
	s_cbranch_scc1 .LBB19_179
; %bb.177:
	s_cmp_gt_i32 s10, 27
	s_cbranch_scc0 .LBB19_180
; %bb.178:
	global_load_dword v1, v[2:3], off
	s_mov_b64 s[2:3], 0
	s_waitcnt vmcnt(0)
	v_cvt_f32_u32_e32 v1, v1
	s_branch .LBB19_181
.LBB19_179:
	s_mov_b64 s[2:3], -1
                                        ; implicit-def: $vgpr1
	s_branch .LBB19_184
.LBB19_180:
	s_mov_b64 s[2:3], -1
                                        ; implicit-def: $vgpr1
.LBB19_181:
	s_andn2_b64 vcc, exec, s[2:3]
	s_cbranch_vccnz .LBB19_183
; %bb.182:
	global_load_ushort v1, v[2:3], off
	s_waitcnt vmcnt(0)
	v_cvt_f32_u32_e32 v1, v1
.LBB19_183:
	s_mov_b64 s[2:3], 0
.LBB19_184:
	s_andn2_b64 vcc, exec, s[2:3]
	s_cbranch_vccnz .LBB19_192
; %bb.185:
	global_load_ubyte v4, v[2:3], off
	s_movk_i32 s2, 0x7f
	s_waitcnt vmcnt(0)
	v_cmp_lt_i16_e32 vcc, s2, v4
	s_mov_b64 s[2:3], 0
	s_and_saveexec_b64 s[6:7], vcc
	s_xor_b64 s[6:7], exec, s[6:7]
	s_cbranch_execz .LBB19_205
; %bb.186:
	s_movk_i32 s2, 0x80
	v_cmp_eq_u16_e32 vcc, s2, v4
	s_mov_b64 s[2:3], -1
	s_and_saveexec_b64 s[8:9], vcc
; %bb.187:
	s_xor_b64 s[2:3], exec, -1
; %bb.188:
	s_or_b64 exec, exec, s[8:9]
	s_and_b64 s[2:3], s[2:3], exec
	s_or_saveexec_b64 s[6:7], s[6:7]
	v_mov_b32_e32 v1, 0x7f800001
	s_xor_b64 exec, exec, s[6:7]
	s_cbranch_execnz .LBB19_206
.LBB19_189:
	s_or_b64 exec, exec, s[6:7]
	s_and_saveexec_b64 s[6:7], s[2:3]
	s_cbranch_execz .LBB19_191
.LBB19_190:
	v_lshlrev_b32_e32 v1, 24, v4
	v_and_b32_e32 v4, 0xffff, v4
	v_and_b32_e32 v5, 7, v4
	v_ffbh_u32_e32 v7, v5
	v_min_u32_e32 v7, 32, v7
	v_subrev_u32_e32 v8, 28, v7
	v_bfe_u32 v6, v4, 3, 4
	v_lshlrev_b32_e32 v4, v8, v4
	v_sub_u32_e32 v7, 29, v7
	v_and_b32_e32 v4, 7, v4
	v_cmp_eq_u32_e32 vcc, 0, v6
	v_and_b32_e32 v1, 0x80000000, v1
	s_nop 0
	v_cndmask_b32_e32 v6, v6, v7, vcc
	v_cndmask_b32_e32 v4, v5, v4, vcc
	v_mov_b32_e32 v5, 0x3b800000
	v_lshlrev_b32_e32 v4, 20, v4
	v_lshl_add_u32 v5, v6, 23, v5
	v_or3_b32 v1, v1, v5, v4
.LBB19_191:
	s_or_b64 exec, exec, s[6:7]
.LBB19_192:
	s_mov_b64 s[2:3], -1
.LBB19_193:
	s_branch .LBB19_228
.LBB19_194:
	s_cmp_gt_i32 s10, 22
	s_cbranch_scc0 .LBB19_204
; %bb.195:
	s_cmp_lt_i32 s10, 24
	s_cbranch_scc1 .LBB19_207
; %bb.196:
	s_cmp_gt_i32 s10, 24
	s_cbranch_scc0 .LBB19_208
; %bb.197:
	global_load_ubyte v4, v[2:3], off
	s_movk_i32 s2, 0x7f
	s_waitcnt vmcnt(0)
	v_cmp_lt_i16_e32 vcc, s2, v4
	s_mov_b64 s[2:3], 0
	s_and_saveexec_b64 s[6:7], vcc
	s_xor_b64 s[6:7], exec, s[6:7]
	s_cbranch_execz .LBB19_220
; %bb.198:
	s_movk_i32 s2, 0x80
	v_cmp_eq_u16_e32 vcc, s2, v4
	s_mov_b64 s[2:3], -1
	s_and_saveexec_b64 s[8:9], vcc
; %bb.199:
	s_xor_b64 s[2:3], exec, -1
; %bb.200:
	s_or_b64 exec, exec, s[8:9]
	s_and_b64 s[2:3], s[2:3], exec
	s_or_saveexec_b64 s[6:7], s[6:7]
	v_mov_b32_e32 v1, 0x7f800001
	s_xor_b64 exec, exec, s[6:7]
	s_cbranch_execnz .LBB19_221
.LBB19_201:
	s_or_b64 exec, exec, s[6:7]
	s_and_saveexec_b64 s[6:7], s[2:3]
	s_cbranch_execz .LBB19_203
.LBB19_202:
	v_lshlrev_b32_e32 v1, 24, v4
	v_and_b32_e32 v4, 0xffff, v4
	v_and_b32_e32 v5, 3, v4
	v_ffbh_u32_e32 v7, v5
	v_min_u32_e32 v7, 32, v7
	v_subrev_u32_e32 v8, 29, v7
	v_bfe_u32 v6, v4, 2, 5
	v_lshlrev_b32_e32 v4, v8, v4
	v_sub_u32_e32 v7, 30, v7
	v_and_b32_e32 v4, 3, v4
	v_cmp_eq_u32_e32 vcc, 0, v6
	v_and_b32_e32 v1, 0x80000000, v1
	s_nop 0
	v_cndmask_b32_e32 v6, v6, v7, vcc
	v_cndmask_b32_e32 v4, v5, v4, vcc
	v_mov_b32_e32 v5, 0x37800000
	v_lshlrev_b32_e32 v4, 21, v4
	v_lshl_add_u32 v5, v6, 23, v5
	v_or3_b32 v1, v1, v5, v4
.LBB19_203:
	s_or_b64 exec, exec, s[6:7]
	s_mov_b64 s[2:3], 0
	s_branch .LBB19_209
.LBB19_204:
	s_mov_b64 s[6:7], -1
                                        ; implicit-def: $vgpr1
	s_branch .LBB19_215
.LBB19_205:
	s_or_saveexec_b64 s[6:7], s[6:7]
	v_mov_b32_e32 v1, 0x7f800001
	s_xor_b64 exec, exec, s[6:7]
	s_cbranch_execz .LBB19_189
.LBB19_206:
	v_cmp_ne_u16_e32 vcc, 0, v4
	s_andn2_b64 s[2:3], s[2:3], exec
	s_and_b64 s[8:9], vcc, exec
	v_mov_b32_e32 v1, 0
	s_or_b64 s[2:3], s[2:3], s[8:9]
	s_or_b64 exec, exec, s[6:7]
	s_and_saveexec_b64 s[6:7], s[2:3]
	s_cbranch_execnz .LBB19_190
	s_branch .LBB19_191
.LBB19_207:
	s_mov_b64 s[2:3], -1
                                        ; implicit-def: $vgpr1
	s_branch .LBB19_212
.LBB19_208:
	s_mov_b64 s[2:3], -1
                                        ; implicit-def: $vgpr1
.LBB19_209:
	s_and_b64 vcc, exec, s[2:3]
	s_cbranch_vccz .LBB19_211
; %bb.210:
	global_load_ubyte v1, v[2:3], off
	s_mov_b32 s2, 0x7f800000
	s_waitcnt vmcnt(0)
	v_lshlrev_b32_e32 v1, 24, v1
	v_and_b32_e32 v4, 0x7f000000, v1
	v_ffbh_u32_e32 v5, v4
	v_min_u32_e32 v5, 32, v5
	v_sub_u32_e64 v5, v5, 4 clamp
	v_lshlrev_b32_e32 v7, v5, v4
	v_lshlrev_b32_e32 v5, 23, v5
	v_lshrrev_b32_e32 v7, 4, v7
	v_add_u32_e32 v6, 0x1000000, v4
	v_sub_u32_e32 v5, v7, v5
	v_ashrrev_i32_e32 v6, 8, v6
	v_add_u32_e32 v5, 0x3c000000, v5
	v_and_or_b32 v5, v6, s2, v5
	v_cmp_ne_u32_e32 vcc, 0, v4
	s_brev_b32 s2, 1
	s_nop 0
	v_cndmask_b32_e32 v4, 0, v5, vcc
	v_and_or_b32 v1, v1, s2, v4
.LBB19_211:
	s_mov_b64 s[2:3], 0
.LBB19_212:
	s_andn2_b64 vcc, exec, s[2:3]
	s_cbranch_vccnz .LBB19_214
; %bb.213:
	global_load_ubyte v1, v[2:3], off
	s_movk_i32 s2, 0x7f00
	s_brev_b32 s3, 16
	s_waitcnt vmcnt(0)
	v_lshlrev_b16_e32 v4, 8, v1
	v_lshlrev_b32_e32 v1, 25, v1
	v_lshrrev_b32_e32 v5, 4, v1
	v_and_or_b32 v6, v4, s2, 0.5
	v_or_b32_e32 v5, 0x70000000, v5
	v_add_f32_e32 v6, -0.5, v6
	v_mul_f32_e32 v5, 0x7800000, v5
	v_cmp_gt_u32_e32 vcc, s3, v1
	v_bfe_i32 v4, v4, 0, 16
	s_brev_b32 s2, 1
	v_cndmask_b32_e32 v1, v5, v6, vcc
	v_and_or_b32 v1, v4, s2, v1
.LBB19_214:
	s_mov_b64 s[6:7], 0
	s_mov_b64 s[2:3], -1
.LBB19_215:
	s_andn2_b64 vcc, exec, s[6:7]
	s_cbranch_vccnz .LBB19_228
; %bb.216:
	s_cmp_gt_i32 s10, 14
	s_cbranch_scc0 .LBB19_219
; %bb.217:
	s_cmp_eq_u32 s10, 15
	s_cbranch_scc0 .LBB19_222
; %bb.218:
	global_load_ushort v1, v[2:3], off
	s_mov_b64 s[2:3], -1
	s_mov_b64 s[4:5], 0
	s_waitcnt vmcnt(0)
	v_lshlrev_b32_e32 v1, 16, v1
	s_branch .LBB19_223
.LBB19_219:
	s_mov_b64 s[6:7], -1
                                        ; implicit-def: $vgpr1
	s_branch .LBB19_224
.LBB19_220:
	s_or_saveexec_b64 s[6:7], s[6:7]
	v_mov_b32_e32 v1, 0x7f800001
	s_xor_b64 exec, exec, s[6:7]
	s_cbranch_execz .LBB19_201
.LBB19_221:
	v_cmp_ne_u16_e32 vcc, 0, v4
	s_andn2_b64 s[2:3], s[2:3], exec
	s_and_b64 s[8:9], vcc, exec
	v_mov_b32_e32 v1, 0
	s_or_b64 s[2:3], s[2:3], s[8:9]
	s_or_b64 exec, exec, s[6:7]
	s_and_saveexec_b64 s[6:7], s[2:3]
	s_cbranch_execnz .LBB19_202
	s_branch .LBB19_203
.LBB19_222:
	s_mov_b64 s[4:5], -1
                                        ; implicit-def: $vgpr1
.LBB19_223:
	s_mov_b64 s[6:7], 0
.LBB19_224:
	s_and_b64 vcc, exec, s[6:7]
	s_cbranch_vccz .LBB19_228
; %bb.225:
	s_cmp_eq_u32 s10, 11
	s_cbranch_scc0 .LBB19_227
; %bb.226:
	global_load_ubyte v1, v[2:3], off
	s_mov_b64 s[2:3], -1
	s_mov_b64 s[4:5], 0
	s_waitcnt vmcnt(0)
	v_cmp_ne_u16_e32 vcc, 0, v1
	s_nop 1
	v_cndmask_b32_e64 v1, 0, 1.0, vcc
	s_branch .LBB19_228
.LBB19_227:
	s_mov_b64 s[4:5], -1
                                        ; implicit-def: $vgpr1
.LBB19_228:
	s_branch .LBB19_25
.LBB19_229:
	s_cmp_lt_i32 s10, 5
	s_cbranch_scc1 .LBB19_234
; %bb.230:
	s_cmp_lt_i32 s10, 8
	s_cbranch_scc1 .LBB19_235
; %bb.231:
	;; [unrolled: 3-line block ×3, first 2 shown]
	s_cmp_gt_i32 s10, 9
	s_cbranch_scc0 .LBB19_237
; %bb.233:
	global_load_dwordx2 v[4:5], v[2:3], off
	s_mov_b64 s[2:3], 0
	s_waitcnt vmcnt(0)
	v_cvt_f32_f64_e32 v1, v[4:5]
	s_branch .LBB19_238
.LBB19_234:
                                        ; implicit-def: $vgpr1
	s_branch .LBB19_256
.LBB19_235:
	s_mov_b64 s[2:3], -1
                                        ; implicit-def: $vgpr1
	s_branch .LBB19_244
.LBB19_236:
	s_mov_b64 s[2:3], -1
                                        ; implicit-def: $vgpr1
	s_branch .LBB19_241
.LBB19_237:
	s_mov_b64 s[2:3], -1
                                        ; implicit-def: $vgpr1
.LBB19_238:
	s_andn2_b64 vcc, exec, s[2:3]
	s_cbranch_vccnz .LBB19_240
; %bb.239:
	global_load_dword v1, v[2:3], off
.LBB19_240:
	s_mov_b64 s[2:3], 0
.LBB19_241:
	s_andn2_b64 vcc, exec, s[2:3]
	s_cbranch_vccnz .LBB19_243
; %bb.242:
	global_load_dword v1, v[2:3], off
	s_waitcnt vmcnt(0)
	v_cvt_f32_f16_e32 v1, v1
.LBB19_243:
	s_mov_b64 s[2:3], 0
.LBB19_244:
	s_andn2_b64 vcc, exec, s[2:3]
	s_cbranch_vccnz .LBB19_255
; %bb.245:
	s_cmp_lt_i32 s10, 6
	s_cbranch_scc1 .LBB19_248
; %bb.246:
	s_cmp_gt_i32 s10, 6
	s_cbranch_scc0 .LBB19_249
; %bb.247:
	global_load_dwordx2 v[4:5], v[2:3], off
	s_mov_b64 s[2:3], 0
	s_waitcnt vmcnt(0)
	v_cvt_f32_f64_e32 v1, v[4:5]
	s_branch .LBB19_250
.LBB19_248:
	s_mov_b64 s[2:3], -1
                                        ; implicit-def: $vgpr1
	s_branch .LBB19_253
.LBB19_249:
	s_mov_b64 s[2:3], -1
                                        ; implicit-def: $vgpr1
.LBB19_250:
	s_andn2_b64 vcc, exec, s[2:3]
	s_cbranch_vccnz .LBB19_252
; %bb.251:
	global_load_dword v1, v[2:3], off
.LBB19_252:
	s_mov_b64 s[2:3], 0
.LBB19_253:
	s_andn2_b64 vcc, exec, s[2:3]
	s_cbranch_vccnz .LBB19_255
; %bb.254:
	global_load_ushort v1, v[2:3], off
	s_waitcnt vmcnt(0)
	v_cvt_f32_f16_e32 v1, v1
.LBB19_255:
	s_cbranch_execnz .LBB19_275
.LBB19_256:
	s_cmp_lt_i32 s10, 2
	s_cbranch_scc1 .LBB19_260
; %bb.257:
	s_cmp_lt_i32 s10, 3
	s_cbranch_scc1 .LBB19_261
; %bb.258:
	s_cmp_gt_i32 s10, 3
	s_cbranch_scc0 .LBB19_262
; %bb.259:
	global_load_dwordx2 v[4:5], v[2:3], off
	s_mov_b64 s[2:3], 0
	s_waitcnt vmcnt(0)
	v_xor_b32_e32 v6, v4, v5
	v_ffbh_i32_e32 v1, v5
	v_ashrrev_i32_e32 v6, 31, v6
	v_add_u32_e32 v1, -1, v1
	v_add_u32_e32 v6, 32, v6
	v_min_u32_e32 v1, v1, v6
	v_lshlrev_b64 v[4:5], v1, v[4:5]
	v_min_u32_e32 v4, 1, v4
	v_or_b32_e32 v4, v5, v4
	v_cvt_f32_i32_e32 v4, v4
	v_sub_u32_e32 v1, 32, v1
	v_ldexp_f32 v1, v4, v1
	s_branch .LBB19_263
.LBB19_260:
	s_mov_b64 s[2:3], -1
                                        ; implicit-def: $vgpr1
	s_branch .LBB19_269
.LBB19_261:
	s_mov_b64 s[2:3], -1
                                        ; implicit-def: $vgpr1
	s_branch .LBB19_266
.LBB19_262:
	s_mov_b64 s[2:3], -1
                                        ; implicit-def: $vgpr1
.LBB19_263:
	s_andn2_b64 vcc, exec, s[2:3]
	s_cbranch_vccnz .LBB19_265
; %bb.264:
	global_load_dword v1, v[2:3], off
	s_waitcnt vmcnt(0)
	v_cvt_f32_i32_e32 v1, v1
.LBB19_265:
	s_mov_b64 s[2:3], 0
.LBB19_266:
	s_andn2_b64 vcc, exec, s[2:3]
	s_cbranch_vccnz .LBB19_268
; %bb.267:
	global_load_sshort v1, v[2:3], off
	s_waitcnt vmcnt(0)
	v_cvt_f32_i32_e32 v1, v1
.LBB19_268:
	s_mov_b64 s[2:3], 0
.LBB19_269:
	s_andn2_b64 vcc, exec, s[2:3]
	s_cbranch_vccnz .LBB19_275
; %bb.270:
	s_cmp_gt_i32 s10, 0
	s_cbranch_scc0 .LBB19_272
; %bb.271:
	global_load_sbyte v1, v[2:3], off
	s_mov_b64 s[2:3], 0
	s_waitcnt vmcnt(0)
	v_cvt_f32_i32_e32 v1, v1
	s_branch .LBB19_273
.LBB19_272:
	s_mov_b64 s[2:3], -1
                                        ; implicit-def: $vgpr1
.LBB19_273:
	s_andn2_b64 vcc, exec, s[2:3]
	s_cbranch_vccnz .LBB19_275
; %bb.274:
	global_load_ubyte v1, v[2:3], off
	s_waitcnt vmcnt(0)
	v_cvt_f32_ubyte0_e32 v1, v1
.LBB19_275:
	s_branch .LBB19_26
.LBB19_276:
	s_mov_b64 s[2:3], 0
.LBB19_277:
	s_mov_b64 s[6:7], 0
                                        ; implicit-def: $vgpr12
.LBB19_278:
	s_and_b64 s[54:55], s[2:3], exec
	s_and_b64 s[56:57], s[4:5], exec
	s_orn2_b64 s[4:5], s[6:7], exec
.LBB19_279:
	s_or_b64 exec, exec, s[58:59]
	s_mov_b64 s[8:9], 0
	s_mov_b64 s[2:3], 0
                                        ; implicit-def: $vgpr2_vgpr3
                                        ; implicit-def: $vgpr0
                                        ; implicit-def: $vgpr1
	s_and_saveexec_b64 s[58:59], s[4:5]
	s_cbranch_execz .LBB19_287
; %bb.280:
	v_cmp_gt_i32_e32 vcc, s70, v12
	s_mov_b64 s[2:3], -1
	s_mov_b64 s[60:61], s[56:57]
	s_mov_b64 s[62:63], s[54:55]
	s_and_saveexec_b64 s[64:65], vcc
	s_cbranch_execz .LBB19_568
; %bb.281:
	s_andn2_b64 vcc, exec, s[42:43]
	s_cbranch_vccnz .LBB19_290
; %bb.282:
	s_andn2_b64 vcc, exec, s[52:53]
	s_cbranch_vccnz .LBB19_291
; %bb.283:
	s_add_i32 s63, s75, 1
	s_cmp_eq_u32 s72, 2
	s_cbranch_scc1 .LBB19_292
; %bb.284:
	s_and_b32 s62, s63, 28
	s_mov_b32 s66, 0
	v_mov_b32_e32 v0, 0
	v_mov_b32_e32 v2, 0
	s_mov_b64 s[2:3], s[34:35]
	s_mov_b64 s[60:61], s[50:51]
	v_mov_b32_e32 v4, v12
.LBB19_285:                             ; =>This Inner Loop Header: Depth=1
	s_load_dwordx8 s[12:19], s[2:3], 0x4
	s_load_dwordx4 s[36:39], s[2:3], 0x24
	s_load_dwordx8 s[4:11], s[60:61], 0x0
	s_add_u32 s2, s2, 48
	s_addc_u32 s3, s3, 0
	s_waitcnt vmcnt(0) lgkmcnt(0)
	v_mul_hi_u32 v1, s13, v4
	v_add_u32_e32 v1, v4, v1
	v_lshrrev_b32_e32 v1, s14, v1
	v_mul_lo_u32 v3, v1, s12
	v_mul_hi_u32 v5, s16, v1
	v_sub_u32_e32 v3, v4, v3
	v_add_u32_e32 v4, v1, v5
	v_lshrrev_b32_e32 v4, s17, v4
	v_mul_lo_u32 v6, v4, s15
	v_mul_hi_u32 v7, s19, v4
	v_sub_u32_e32 v1, v1, v6
	v_add_u32_e32 v6, v4, v7
	v_mul_lo_u32 v5, v3, s5
	v_mul_lo_u32 v3, v3, s4
	;; [unrolled: 1-line block ×4, first 2 shown]
	v_lshrrev_b32_e32 v6, s36, v6
	v_add3_u32 v0, v3, v0, v1
	v_mul_hi_u32 v3, s38, v6
	v_add3_u32 v1, v5, v2, v7
	v_mul_lo_u32 v2, v6, s18
	v_add_u32_e32 v3, v6, v3
	v_sub_u32_e32 v2, v4, v2
	v_lshrrev_b32_e32 v4, s39, v3
	s_add_i32 s66, s66, 4
	v_mul_lo_u32 v3, v4, s37
	s_add_u32 s60, s60, 32
	v_sub_u32_e32 v3, v6, v3
	s_addc_u32 s61, s61, 0
	v_mul_lo_u32 v5, v2, s8
	v_mul_lo_u32 v2, v2, s9
	;; [unrolled: 1-line block ×4, first 2 shown]
	s_cmp_eq_u32 s62, s66
	v_add3_u32 v2, v2, v1, v3
	v_add3_u32 v0, v5, v0, v6
	s_cbranch_scc0 .LBB19_285
; %bb.286:
	v_mov_b32_e32 v1, v2
	s_branch .LBB19_293
.LBB19_287:
	s_or_b64 exec, exec, s[58:59]
	s_mov_b64 s[4:5], 0
	s_and_saveexec_b64 s[6:7], s[56:57]
	s_cbranch_execnz .LBB19_958
.LBB19_288:
	s_or_b64 exec, exec, s[6:7]
	s_and_saveexec_b64 s[6:7], s[62:63]
	s_xor_b64 s[6:7], exec, s[6:7]
	s_cbranch_execz .LBB19_959
.LBB19_289:
	global_load_ubyte v1, v[2:3], off
	s_or_b64 s[2:3], s[2:3], exec
	s_waitcnt vmcnt(0)
	v_cmp_ne_u16_e32 vcc, 0, v1
	s_nop 1
	v_cndmask_b32_e64 v1, 0, 1.0, vcc
	s_or_b64 exec, exec, s[6:7]
	s_and_saveexec_b64 s[6:7], s[8:9]
	s_cbranch_execz .LBB19_1005
	s_branch .LBB19_960
.LBB19_290:
                                        ; implicit-def: $vgpr2
                                        ; implicit-def: $vgpr0
	s_andn2_b64 vcc, exec, s[2:3]
	s_cbranch_vccz .LBB19_297
	s_branch .LBB19_299
.LBB19_291:
	v_mov_b32_e32 v2, 0
	v_mov_b32_e32 v0, 0
	s_branch .LBB19_296
.LBB19_292:
	v_mov_b32_e32 v0, 0
	s_mov_b32 s62, 0
	s_waitcnt vmcnt(0)
	v_mov_b32_e32 v1, v0
                                        ; implicit-def: $vgpr2
	v_mov_b32_e32 v4, v12
.LBB19_293:
	s_and_b32 s6, s63, 3
	s_cmp_eq_u32 s6, 0
	s_cbranch_scc1 .LBB19_296
; %bb.294:
	s_lshl_b32 s2, s62, 3
	s_add_u32 s2, s34, s2
	s_addc_u32 s3, s35, 0
	s_add_u32 s2, s2, 0xc4
	s_addc_u32 s3, s3, 0
	s_mul_i32 s4, s62, 12
	s_add_u32 s4, s34, s4
	s_addc_u32 s5, s35, 0
.LBB19_295:                             ; =>This Inner Loop Header: Depth=1
	s_load_dwordx2 s[8:9], s[4:5], 0x4
	s_load_dword s7, s[4:5], 0xc
	s_load_dwordx2 s[10:11], s[2:3], 0x0
	v_mov_b32_e32 v2, v1
	s_add_u32 s4, s4, 12
	s_waitcnt lgkmcnt(0)
	v_mul_hi_u32 v1, s9, v4
	v_add_u32_e32 v1, v4, v1
	v_lshrrev_b32_e32 v1, s7, v1
	s_addc_u32 s5, s5, 0
	v_mul_lo_u32 v3, v1, s8
	s_add_u32 s2, s2, 8
	v_sub_u32_e32 v5, v4, v3
	s_addc_u32 s3, s3, 0
	s_add_i32 s6, s6, -1
	v_mov_b32_e32 v4, v1
	v_mad_u64_u32 v[2:3], s[8:9], v5, s11, v[2:3]
	v_mad_u64_u32 v[0:1], s[8:9], v5, s10, v[0:1]
	s_cmp_lg_u32 s6, 0
	v_mov_b32_e32 v1, v2
	s_cbranch_scc1 .LBB19_295
.LBB19_296:
	s_cbranch_execnz .LBB19_299
.LBB19_297:
	s_waitcnt lgkmcnt(0)
	v_mul_hi_u32 v0, s29, v12
	v_add_u32_e32 v0, v12, v0
	s_waitcnt vmcnt(0)
	v_lshrrev_b32_e32 v1, s30, v0
	v_mul_lo_u32 v0, v1, s28
	v_sub_u32_e32 v0, v12, v0
	v_mul_lo_u32 v2, v0, s25
	s_andn2_b64 vcc, exec, s[48:49]
	v_mul_lo_u32 v0, v0, s24
	s_cbranch_vccnz .LBB19_299
; %bb.298:
	v_mul_hi_u32 v3, s46, v1
	v_add_u32_e32 v3, v1, v3
	v_lshrrev_b32_e32 v3, s47, v3
	v_mul_lo_u32 v3, v3, s31
	v_sub_u32_e32 v3, v1, v3
	v_mad_u64_u32 v[0:1], s[2:3], v3, s26, v[0:1]
	v_mad_u64_u32 v[2:3], s[2:3], v3, s27, v[2:3]
.LBB19_299:
	v_mov_b32_e32 v3, 0
	s_and_b32 s10, 0xffff, s74
	s_cmp_lt_i32 s10, 11
	s_waitcnt lgkmcnt(0)
	v_lshl_add_u64 v[2:3], s[22:23], 0, v[2:3]
	s_cbranch_scc1 .LBB19_306
; %bb.300:
	s_cmp_gt_i32 s10, 25
	s_cbranch_scc0 .LBB19_327
; %bb.301:
	s_cmp_gt_i32 s10, 28
	s_cbranch_scc0 .LBB19_329
	;; [unrolled: 3-line block ×4, first 2 shown]
; %bb.304:
	s_cmp_eq_u32 s10, 46
	s_mov_b64 s[6:7], 0
	s_cbranch_scc0 .LBB19_339
; %bb.305:
	global_load_dword v1, v[2:3], off
	s_mov_b64 s[2:3], -1
	s_mov_b64 s[4:5], 0
	s_waitcnt vmcnt(0)
	v_lshlrev_b32_e32 v1, 16, v1
	s_branch .LBB19_340
.LBB19_306:
	s_mov_b64 s[2:3], 0
                                        ; implicit-def: $vgpr1
	s_mov_b64 s[4:5], s[56:57]
	s_cbranch_execnz .LBB19_517
.LBB19_307:
	s_andn2_b64 vcc, exec, s[2:3]
	s_cbranch_vccnz .LBB19_565
.LBB19_308:
	s_mov_b32 s2, 0x41000000
	s_waitcnt vmcnt(0)
	v_cmp_le_f32_e64 s[2:3], |v1|, s2
                                        ; implicit-def: $vgpr2
	s_and_saveexec_b64 s[6:7], s[2:3]
	s_xor_b64 s[6:7], exec, s[6:7]
	s_cbranch_execz .LBB19_314
; %bb.309:
	v_fma_f32 v2, |v1|, 0.5, -2.0
	v_mov_b32_e32 v3, 0xa3c2be86
	v_fmac_f32_e32 v3, 0x224cf950, v2
	v_fmaak_f32 v4, v2, v3, 0xa24cf950
	v_add_f32_e32 v4, 0x25331f1f, v4
	v_fma_f32 v3, v2, v4, -v3
	v_add_f32_e32 v3, 0xa69f5554, v3
	v_fma_f32 v4, v2, v3, -v4
	;; [unrolled: 2-line block ×25, first 2 shown]
	v_add_f32_e32 v3, 0xbe34a688, v3
	s_mov_b32 s2, 0x3fb8aa3b
	v_fma_f32 v2, v2, v3, -v4
	v_mul_f32_e64 v3, |v1|, s2
	v_rndne_f32_e32 v5, v3
	v_sub_f32_e32 v6, v3, v5
	v_fma_f32 v3, |v1|, s2, -v3
	s_mov_b32 s2, 0x32a5705f
	v_fma_f32 v3, |v1|, s2, v3
	v_add_f32_e32 v3, v6, v3
	v_exp_f32_e32 v6, v3
	v_cvt_i32_f32_e32 v5, v5
	v_add_f32_e32 v2, 0x3e81531c, v2
	v_sub_f32_e32 v2, v2, v4
	v_mul_f32_e32 v2, 0.5, v2
	s_mov_b32 s2, 0xc2ce8ed0
	v_mul_f32_e64 v3, |v1|, v2
	v_ldexp_f32 v2, v6, v5
	v_cmp_nlt_f32_e64 s[2:3], |v1|, s2
	v_mov_b32_e32 v4, 0x7f800000
	v_cmp_ngt_f32_e32 vcc, 0, v1
	v_cndmask_b32_e64 v2, 0, v2, s[2:3]
	s_mov_b32 s2, 0x42b17218
	v_cmp_ngt_f32_e64 s[2:3], |v1|, s2
	s_nop 1
	v_cndmask_b32_e64 v1, v4, v2, s[2:3]
                                        ; implicit-def: $vgpr2
	s_and_saveexec_b64 s[2:3], vcc
	s_xor_b64 s[2:3], exec, s[2:3]
; %bb.310:
	v_mul_f32_e32 v2, v1, v3
                                        ; implicit-def: $vgpr1
                                        ; implicit-def: $vgpr3
; %bb.311:
	s_andn2_saveexec_b64 s[2:3], s[2:3]
; %bb.312:
	v_mul_f32_e64 v2, v3, -v1
; %bb.313:
	s_or_b64 exec, exec, s[2:3]
                                        ; implicit-def: $vgpr1
.LBB19_314:
	s_andn2_saveexec_b64 s[6:7], s[6:7]
	s_cbranch_execz .LBB19_320
; %bb.315:
	v_and_b32_e32 v2, 0x7fffffff, v1
	s_mov_b32 s8, 0x42000000
	v_div_scale_f32 v3, s[2:3], v2, v2, s8
	v_rcp_f32_e32 v4, v3
	v_div_scale_f32 v2, vcc, s8, v2, s8
	s_mov_b32 s2, 0x3fb8aa3b
	v_fma_f32 v5, -v3, v4, 1.0
	v_fmac_f32_e32 v4, v5, v4
	v_mul_f32_e32 v5, v2, v4
	v_fma_f32 v6, -v3, v5, v2
	v_fmac_f32_e32 v5, v6, v4
	v_fma_f32 v2, -v3, v5, v2
	v_div_fmas_f32 v2, v2, v4, v5
	v_div_fixup_f32 v2, v2, |v1|, s8
	v_add_f32_e32 v2, -2.0, v2
	v_mov_b32_e32 v3, 0x22a2dc57
	v_fmac_f32_e32 v3, 0x230aab6e, v2
	v_fmaak_f32 v4, v2, v3, 0xa30aab6e
	v_add_f32_e32 v4, 0xa456751e, v4
	v_fma_f32 v3, v2, v4, -v3
	v_add_f32_e32 v3, 0xa4140365, v3
	v_fma_f32 v4, v2, v3, -v4
	;; [unrolled: 2-line block ×17, first 2 shown]
	v_add_f32_e32 v3, 0xb2e20a9d, v3
	v_mul_f32_e64 v5, |v1|, s2
	v_fma_f32 v4, v2, v3, -v4
	v_rndne_f32_e32 v6, v5
	v_add_f32_e32 v4, 0xb486dfe9, v4
	v_sub_f32_e32 v7, v5, v6
	v_fma_f32 v5, |v1|, s2, -v5
	s_mov_b32 s2, 0x32a5705f
	v_fma_f32 v3, v2, v4, -v3
	v_fma_f32 v5, |v1|, s2, v5
	v_add_f32_e32 v3, 0xb68246fa, v3
	v_add_f32_e32 v5, v7, v5
	v_fma_f32 v4, v2, v3, -v4
	v_exp_f32_e32 v5, v5
	v_cvt_i32_f32_e32 v6, v6
	v_add_f32_e32 v4, 0xb8e7ebfc, v4
	v_fma_f32 v3, v2, v4, -v3
	v_add_f32_e32 v3, 0xbc1fed03, v3
	s_mov_b32 s2, 0xc2ce8ed0
	v_fma_f32 v2, v2, v3, -v4
	v_ldexp_f32 v3, v5, v6
	v_cmp_nlt_f32_e64 s[2:3], |v1|, s2
	v_add_f32_e32 v2, 0x3f4750c6, v2
	v_mov_b32_e32 v5, 0x7f800000
	v_cndmask_b32_e64 v3, 0, v3, s[2:3]
	s_mov_b32 s2, 0x42b17218
	v_cmp_ngt_f32_e64 s[2:3], |v1|, s2
	v_cmp_ngt_f32_e32 vcc, 0, v1
	v_sub_f32_e32 v4, v2, v4
	v_cndmask_b32_e64 v3, v5, v3, s[2:3]
                                        ; implicit-def: $vgpr2
	s_and_saveexec_b64 s[2:3], vcc
	s_xor_b64 s[8:9], exec, s[2:3]
	s_cbranch_execz .LBB19_317
; %bb.316:
	s_mov_b32 s2, 0xf800000
	s_mov_b32 s3, 0x4f800000
	v_mul_f32_e64 v2, |v1|, s3
	v_cmp_lt_f32_e64 vcc, |v1|, s2
	v_mul_f32_e32 v4, 0.5, v4
	v_mul_f32_e32 v3, v3, v4
	v_cndmask_b32_e64 v1, |v1|, v2, vcc
	v_sqrt_f32_e32 v2, v1
	s_nop 0
	v_add_u32_e32 v4, -1, v2
	v_fma_f32 v5, -v4, v2, v1
	v_cmp_ge_f32_e64 s[2:3], 0, v5
	v_add_u32_e32 v5, 1, v2
	s_nop 0
	v_cndmask_b32_e64 v4, v2, v4, s[2:3]
	v_fma_f32 v2, -v5, v2, v1
	v_cmp_lt_f32_e64 s[2:3], 0, v2
	s_nop 1
	v_cndmask_b32_e64 v2, v4, v5, s[2:3]
	v_mul_f32_e32 v4, 0x37800000, v2
	v_cndmask_b32_e32 v2, v2, v4, vcc
	v_mov_b32_e32 v4, 0x260
	v_cmp_class_f32_e32 vcc, v1, v4
	s_nop 1
	v_cndmask_b32_e32 v1, v2, v1, vcc
	v_div_scale_f32 v2, s[2:3], v1, v1, v3
	v_rcp_f32_e32 v4, v2
	s_nop 0
	v_fma_f32 v5, -v2, v4, 1.0
	v_fmac_f32_e32 v4, v5, v4
	v_div_scale_f32 v5, vcc, v3, v1, v3
	v_mul_f32_e32 v6, v5, v4
	v_fma_f32 v7, -v2, v6, v5
	v_fmac_f32_e32 v6, v7, v4
	v_fma_f32 v2, -v2, v6, v5
	v_div_fmas_f32 v2, v2, v4, v6
	v_div_fixup_f32 v2, v2, v1, v3
                                        ; implicit-def: $vgpr1
                                        ; implicit-def: $vgpr4
                                        ; implicit-def: $vgpr3
.LBB19_317:
	s_andn2_saveexec_b64 s[8:9], s[8:9]
	s_cbranch_execz .LBB19_319
; %bb.318:
	s_mov_b32 s2, 0xf800000
	s_mov_b32 s3, 0x4f800000
	v_mul_f32_e64 v2, |v1|, s3
	v_cmp_lt_f32_e64 vcc, |v1|, s2
	s_nop 1
	v_cndmask_b32_e64 v1, |v1|, v2, vcc
	v_sqrt_f32_e32 v2, v1
	s_nop 0
	v_add_u32_e32 v5, -1, v2
	v_fma_f32 v6, -v5, v2, v1
	v_cmp_ge_f32_e64 s[2:3], 0, v6
	v_add_u32_e32 v6, 1, v2
	s_nop 0
	v_cndmask_b32_e64 v5, v2, v5, s[2:3]
	v_fma_f32 v2, -v6, v2, v1
	v_cmp_lt_f32_e64 s[2:3], 0, v2
	s_nop 1
	v_cndmask_b32_e64 v2, v5, v6, s[2:3]
	v_mul_f32_e32 v5, 0x37800000, v2
	v_cndmask_b32_e32 v2, v2, v5, vcc
	v_mov_b32_e32 v5, 0x260
	v_cmp_class_f32_e32 vcc, v1, v5
	s_nop 1
	v_cndmask_b32_e32 v1, v2, v1, vcc
	v_mul_f32_e32 v2, -0.5, v4
	v_mul_f32_e32 v2, v3, v2
	v_div_scale_f32 v3, s[2:3], v1, v1, v2
	v_rcp_f32_e32 v4, v3
	s_nop 0
	v_fma_f32 v5, -v3, v4, 1.0
	v_fmac_f32_e32 v4, v5, v4
	v_div_scale_f32 v5, vcc, v2, v1, v2
	v_mul_f32_e32 v6, v5, v4
	v_fma_f32 v7, -v3, v6, v5
	v_fmac_f32_e32 v6, v7, v4
	v_fma_f32 v3, -v3, v6, v5
	v_div_fmas_f32 v3, v3, v4, v6
	v_div_fixup_f32 v2, v3, v1, v2
.LBB19_319:
	s_or_b64 exec, exec, s[8:9]
.LBB19_320:
	s_or_b64 exec, exec, s[6:7]
	v_mov_b32_e32 v1, 0
	s_and_b32 s12, s73, 0xff
	s_cmp_lt_i32 s12, 11
	v_lshl_add_u64 v[0:1], s[20:21], 0, v[0:1]
	s_cbranch_scc1 .LBB19_328
; %bb.321:
	s_and_b32 s13, 0xffff, s12
	s_cmp_gt_i32 s13, 25
	s_cbranch_scc0 .LBB19_330
; %bb.322:
	s_cmp_gt_i32 s13, 28
	s_cbranch_scc0 .LBB19_332
; %bb.323:
	;; [unrolled: 3-line block ×4, first 2 shown]
	s_mov_b64 s[8:9], 0
	s_mov_b64 s[2:3], -1
	s_cmp_eq_u32 s13, 46
	s_mov_b64 s[6:7], 0
	s_cbranch_scc0 .LBB19_344
; %bb.326:
	v_bfe_u32 v3, v2, 16, 1
	s_movk_i32 s2, 0x7fff
	v_add3_u32 v3, v2, v3, s2
	v_cmp_o_f32_e32 vcc, v2, v2
	v_mov_b32_e32 v4, 0x7fc0
	s_mov_b64 s[6:7], -1
	v_cndmask_b32_sdwa v3, v4, v3, vcc dst_sel:DWORD dst_unused:UNUSED_PAD src0_sel:DWORD src1_sel:WORD_1
	global_store_dword v[0:1], v3, off
	s_mov_b64 s[2:3], 0
	s_branch .LBB19_344
.LBB19_327:
	s_mov_b64 s[6:7], -1
	s_mov_b64 s[2:3], 0
	s_mov_b64 s[4:5], s[56:57]
                                        ; implicit-def: $vgpr1
	s_branch .LBB19_481
.LBB19_328:
	s_mov_b64 s[8:9], -1
	s_mov_b64 s[6:7], 0
	s_mov_b64 s[2:3], s[54:55]
	s_branch .LBB19_413
.LBB19_329:
	s_mov_b64 s[6:7], -1
	s_mov_b64 s[2:3], 0
	s_mov_b64 s[4:5], s[56:57]
                                        ; implicit-def: $vgpr1
	s_branch .LBB19_462
.LBB19_330:
	s_mov_b64 s[8:9], -1
	s_mov_b64 s[6:7], 0
	s_mov_b64 s[2:3], s[54:55]
	s_branch .LBB19_371
.LBB19_331:
	s_mov_b64 s[6:7], -1
	s_mov_b64 s[2:3], 0
	s_mov_b64 s[4:5], s[56:57]
                                        ; implicit-def: $vgpr1
	s_branch .LBB19_457
.LBB19_332:
	s_mov_b64 s[8:9], -1
	s_mov_b64 s[6:7], 0
	s_mov_b64 s[2:3], s[54:55]
	s_branch .LBB19_354
.LBB19_333:
	s_andn2_saveexec_b64 s[10:11], s[10:11]
	s_cbranch_execz .LBB19_81
.LBB19_334:
	s_mov_b32 s14, 0x46000000
	v_add_f32_e64 v3, |v2|, s14
	v_and_b32_e32 v3, 0xff, v3
	v_cmp_ne_u32_e32 vcc, 0, v3
	s_andn2_b64 s[8:9], s[8:9], exec
	s_and_b64 s[14:15], vcc, exec
	s_or_b64 s[8:9], s[8:9], s[14:15]
	s_or_b64 exec, exec, s[10:11]
	v_mov_b32_e32 v4, 0
	s_and_saveexec_b64 s[10:11], s[8:9]
	s_cbranch_execnz .LBB19_82
	s_branch .LBB19_83
.LBB19_335:
	s_mov_b64 s[6:7], -1
	s_mov_b64 s[2:3], 0
	s_mov_b64 s[4:5], s[56:57]
                                        ; implicit-def: $vgpr1
	s_branch .LBB19_340
.LBB19_336:
	s_mov_b64 s[8:9], -1
	s_mov_b64 s[6:7], 0
	s_mov_b64 s[2:3], s[54:55]
	s_branch .LBB19_350
.LBB19_337:
	s_andn2_saveexec_b64 s[10:11], s[10:11]
	s_cbranch_execz .LBB19_94
.LBB19_338:
	s_mov_b32 s14, 0x42800000
	v_add_f32_e64 v3, |v2|, s14
	v_and_b32_e32 v3, 0xff, v3
	v_cmp_ne_u32_e32 vcc, 0, v3
	s_andn2_b64 s[8:9], s[8:9], exec
	s_and_b64 s[14:15], vcc, exec
	s_or_b64 s[8:9], s[8:9], s[14:15]
	s_or_b64 exec, exec, s[10:11]
	v_mov_b32_e32 v4, 0
	s_and_saveexec_b64 s[10:11], s[8:9]
	s_cbranch_execnz .LBB19_95
	s_branch .LBB19_96
.LBB19_339:
	s_mov_b64 s[4:5], -1
                                        ; implicit-def: $vgpr1
	s_mov_b64 s[2:3], 0
.LBB19_340:
	s_and_b64 vcc, exec, s[6:7]
	s_cbranch_vccz .LBB19_456
; %bb.341:
	s_cmp_eq_u32 s10, 44
	s_cbranch_scc0 .LBB19_455
; %bb.342:
	global_load_ubyte v1, v[2:3], off
	s_movk_i32 s4, 0xff
	v_mov_b32_e32 v4, 0x7f800001
	v_mov_b32_e32 v5, 0x400000
	s_mov_b64 s[2:3], -1
	s_waitcnt vmcnt(0)
	v_lshlrev_b32_e32 v6, 23, v1
	v_cmp_ne_u32_e32 vcc, s4, v1
	s_mov_b64 s[4:5], 0
	s_nop 0
	v_cndmask_b32_e32 v4, v4, v6, vcc
	v_cmp_ne_u32_e32 vcc, 0, v1
	s_nop 1
	v_cndmask_b32_e32 v1, v5, v4, vcc
	s_branch .LBB19_456
.LBB19_343:
	s_mov_b64 s[8:9], -1
	s_mov_b64 s[6:7], 0
	s_mov_b64 s[2:3], s[54:55]
.LBB19_344:
	s_and_b64 vcc, exec, s[8:9]
	s_cbranch_vccz .LBB19_349
; %bb.345:
	s_cmp_eq_u32 s13, 44
	s_mov_b64 s[2:3], -1
	s_cbranch_scc0 .LBB19_349
; %bb.346:
	v_bfe_u32 v3, v2, 23, 8
	s_movk_i32 s2, 0xff
	v_cmp_ne_u32_e32 vcc, s2, v3
	v_mov_b32_e32 v4, 0xff
	s_and_saveexec_b64 s[6:7], vcc
; %bb.347:
	s_mov_b32 s2, 0x3fffff
	v_and_b32_e32 v5, 0x400000, v2
	v_and_or_b32 v3, v2, s2, v3
	v_cmp_ne_u32_e32 vcc, 0, v5
	v_cmp_ne_u32_e64 s[2:3], 0, v3
	s_and_b64 s[2:3], vcc, s[2:3]
	v_lshrrev_b32_e32 v4, 23, v2
	v_cndmask_b32_e64 v3, 0, 1, s[2:3]
	v_add_u32_e32 v4, v4, v3
; %bb.348:
	s_or_b64 exec, exec, s[6:7]
	s_mov_b64 s[6:7], -1
	s_mov_b64 s[2:3], 0
	global_store_byte v[0:1], v4, off
.LBB19_349:
	s_mov_b64 s[8:9], 0
.LBB19_350:
	s_and_b64 vcc, exec, s[8:9]
	s_cbranch_vccz .LBB19_353
; %bb.351:
	s_cmp_eq_u32 s13, 29
	s_mov_b64 s[2:3], -1
	s_cbranch_scc0 .LBB19_353
; %bb.352:
	v_trunc_f32_e32 v3, v2
	v_mul_f32_e32 v4, 0x2f800000, v3
	v_floor_f32_e32 v4, v4
	v_fmamk_f32 v3, v4, 0xcf800000, v3
	v_cvt_u32_f32_e32 v5, v4
	v_cvt_u32_f32_e32 v4, v3
	s_mov_b64 s[6:7], -1
	s_mov_b64 s[2:3], 0
	s_mov_b64 s[8:9], 0
	global_store_dwordx2 v[0:1], v[4:5], off
	s_branch .LBB19_354
.LBB19_353:
	s_mov_b64 s[8:9], 0
.LBB19_354:
	s_and_b64 vcc, exec, s[8:9]
	s_cbranch_vccz .LBB19_370
; %bb.355:
	s_cmp_lt_i32 s13, 27
	s_mov_b64 s[6:7], -1
	s_cbranch_scc1 .LBB19_361
; %bb.356:
	v_cvt_u32_f32_e32 v3, v2
	s_cmp_gt_i32 s13, 27
	s_cbranch_scc0 .LBB19_358
; %bb.357:
	s_mov_b64 s[6:7], 0
	global_store_dword v[0:1], v3, off
.LBB19_358:
	s_andn2_b64 vcc, exec, s[6:7]
	s_cbranch_vccnz .LBB19_360
; %bb.359:
	global_store_short v[0:1], v3, off
.LBB19_360:
	s_mov_b64 s[6:7], 0
.LBB19_361:
	s_andn2_b64 vcc, exec, s[6:7]
	s_cbranch_vccnz .LBB19_369
; %bb.362:
	v_and_b32_e32 v3, 0x7fffffff, v2
	s_mov_b32 s6, 0x43800000
	v_cmp_gt_u32_e32 vcc, s6, v3
	v_mov_b32_e32 v4, 0x80
	s_and_saveexec_b64 s[6:7], vcc
	s_cbranch_execz .LBB19_368
; %bb.363:
	s_mov_b32 s8, 0x3bffffff
	v_cmp_lt_u32_e32 vcc, s8, v3
	s_mov_b64 s[8:9], 0
                                        ; implicit-def: $vgpr3
	s_and_saveexec_b64 s[10:11], vcc
	s_xor_b64 s[10:11], exec, s[10:11]
	s_cbranch_execz .LBB19_597
; %bb.364:
	v_bfe_u32 v3, v2, 20, 1
	s_mov_b32 s14, 0x487ffff
	v_add3_u32 v3, v2, v3, s14
	s_mov_b64 s[8:9], exec
	v_lshrrev_b32_e32 v3, 20, v3
	s_andn2_saveexec_b64 s[10:11], s[10:11]
	s_cbranch_execnz .LBB19_598
.LBB19_365:
	s_or_b64 exec, exec, s[10:11]
	v_mov_b32_e32 v4, 0
	s_and_saveexec_b64 s[10:11], s[8:9]
.LBB19_366:
	v_lshrrev_b32_e32 v4, 24, v2
	s_movk_i32 s8, 0x80
	v_and_or_b32 v4, v4, s8, v3
.LBB19_367:
	s_or_b64 exec, exec, s[10:11]
.LBB19_368:
	s_or_b64 exec, exec, s[6:7]
	global_store_byte v[0:1], v4, off
.LBB19_369:
	s_mov_b64 s[6:7], -1
.LBB19_370:
	s_mov_b64 s[8:9], 0
.LBB19_371:
	s_and_b64 vcc, exec, s[8:9]
	s_cbranch_vccz .LBB19_412
; %bb.372:
	s_cmp_gt_i32 s13, 22
	s_mov_b64 s[8:9], -1
	s_cbranch_scc0 .LBB19_404
; %bb.373:
	s_cmp_lt_i32 s13, 24
	s_mov_b64 s[6:7], -1
	s_cbranch_scc1 .LBB19_393
; %bb.374:
	s_cmp_gt_i32 s13, 24
	s_cbranch_scc0 .LBB19_382
; %bb.375:
	v_and_b32_e32 v3, 0x7fffffff, v2
	s_mov_b32 s6, 0x47800000
	v_cmp_gt_u32_e32 vcc, s6, v3
	v_mov_b32_e32 v4, 0x80
	s_and_saveexec_b64 s[6:7], vcc
	s_cbranch_execz .LBB19_381
; %bb.376:
	s_mov_b32 s8, 0x37ffffff
	v_cmp_lt_u32_e32 vcc, s8, v3
	s_mov_b64 s[8:9], 0
                                        ; implicit-def: $vgpr3
	s_and_saveexec_b64 s[10:11], vcc
	s_xor_b64 s[10:11], exec, s[10:11]
	s_cbranch_execz .LBB19_600
; %bb.377:
	v_bfe_u32 v3, v2, 21, 1
	s_mov_b32 s14, 0x88fffff
	v_add3_u32 v3, v2, v3, s14
	s_mov_b64 s[8:9], exec
	v_lshrrev_b32_e32 v3, 21, v3
	s_andn2_saveexec_b64 s[10:11], s[10:11]
	s_cbranch_execnz .LBB19_601
.LBB19_378:
	s_or_b64 exec, exec, s[10:11]
	v_mov_b32_e32 v4, 0
	s_and_saveexec_b64 s[10:11], s[8:9]
.LBB19_379:
	v_lshrrev_b32_e32 v4, 24, v2
	s_movk_i32 s8, 0x80
	v_and_or_b32 v4, v4, s8, v3
.LBB19_380:
	s_or_b64 exec, exec, s[10:11]
.LBB19_381:
	s_or_b64 exec, exec, s[6:7]
	s_mov_b64 s[6:7], 0
	global_store_byte v[0:1], v4, off
.LBB19_382:
	s_and_b64 vcc, exec, s[6:7]
	s_cbranch_vccz .LBB19_392
; %bb.383:
	v_and_b32_e32 v4, 0x7fffffff, v2
	s_mov_b32 s6, 0x43f00000
	v_cmp_gt_u32_e32 vcc, s6, v4
                                        ; implicit-def: $vgpr3
	s_and_saveexec_b64 s[6:7], vcc
	s_xor_b64 s[6:7], exec, s[6:7]
	s_cbranch_execz .LBB19_389
; %bb.384:
	s_mov_b32 s8, 0x3c7fffff
	v_cmp_lt_u32_e32 vcc, s8, v4
                                        ; implicit-def: $vgpr3
	s_and_saveexec_b64 s[8:9], vcc
	s_xor_b64 s[8:9], exec, s[8:9]
; %bb.385:
	v_bfe_u32 v3, v2, 20, 1
	s_mov_b32 s10, 0x407ffff
	v_add3_u32 v3, v2, v3, s10
	v_lshrrev_b32_e32 v4, 20, v3
	v_and_b32_e32 v3, 0xff00000, v3
	s_mov_b32 s10, 0x7f00000
	v_mov_b32_e32 v5, 0x7e
	v_cmp_ne_u32_e32 vcc, s10, v3
	s_nop 1
	v_cndmask_b32_e32 v3, v5, v4, vcc
; %bb.386:
	s_andn2_saveexec_b64 s[8:9], s[8:9]
; %bb.387:
	s_mov_b32 s10, 0x46800000
	v_add_f32_e64 v3, |v2|, s10
; %bb.388:
	s_or_b64 exec, exec, s[8:9]
                                        ; implicit-def: $vgpr4
.LBB19_389:
	s_andn2_saveexec_b64 s[6:7], s[6:7]
; %bb.390:
	s_mov_b32 s8, 0x7f800000
	v_mov_b32_e32 v3, 0x7e
	v_mov_b32_e32 v5, 0x7f
	v_cmp_lt_u32_e32 vcc, s8, v4
	s_nop 1
	v_cndmask_b32_e32 v3, v3, v5, vcc
; %bb.391:
	s_or_b64 exec, exec, s[6:7]
	v_lshrrev_b32_e32 v4, 24, v2
	s_movk_i32 s6, 0x80
	v_and_or_b32 v3, v4, s6, v3
	global_store_byte v[0:1], v3, off
.LBB19_392:
	s_mov_b64 s[6:7], 0
.LBB19_393:
	s_andn2_b64 vcc, exec, s[6:7]
	s_cbranch_vccnz .LBB19_403
; %bb.394:
	v_and_b32_e32 v4, 0x7fffffff, v2
	s_mov_b32 s6, 0x47800000
	v_cmp_gt_u32_e32 vcc, s6, v4
                                        ; implicit-def: $vgpr3
	s_and_saveexec_b64 s[6:7], vcc
	s_xor_b64 s[6:7], exec, s[6:7]
	s_cbranch_execz .LBB19_400
; %bb.395:
	s_mov_b32 s8, 0x387fffff
	v_cmp_lt_u32_e32 vcc, s8, v4
                                        ; implicit-def: $vgpr3
	s_and_saveexec_b64 s[8:9], vcc
	s_xor_b64 s[8:9], exec, s[8:9]
; %bb.396:
	v_bfe_u32 v3, v2, 21, 1
	s_mov_b32 s10, 0x80fffff
	v_add3_u32 v3, v2, v3, s10
	v_lshrrev_b32_e32 v3, 21, v3
; %bb.397:
	s_andn2_saveexec_b64 s[8:9], s[8:9]
; %bb.398:
	s_mov_b32 s10, 0x43000000
	v_add_f32_e64 v3, |v2|, s10
; %bb.399:
	s_or_b64 exec, exec, s[8:9]
                                        ; implicit-def: $vgpr4
.LBB19_400:
	s_andn2_saveexec_b64 s[6:7], s[6:7]
; %bb.401:
	s_mov_b32 s8, 0x7f800000
	v_mov_b32_e32 v3, 0x7c
	v_mov_b32_e32 v5, 0x7f
	v_cmp_lt_u32_e32 vcc, s8, v4
	s_nop 1
	v_cndmask_b32_e32 v3, v3, v5, vcc
; %bb.402:
	s_or_b64 exec, exec, s[6:7]
	v_lshrrev_b32_e32 v4, 24, v2
	s_movk_i32 s6, 0x80
	v_and_or_b32 v3, v4, s6, v3
	global_store_byte v[0:1], v3, off
.LBB19_403:
	s_mov_b64 s[8:9], 0
	s_mov_b64 s[6:7], -1
.LBB19_404:
	s_andn2_b64 vcc, exec, s[8:9]
	s_cbranch_vccnz .LBB19_412
; %bb.405:
	s_cmp_gt_i32 s13, 14
	s_mov_b64 s[8:9], -1
	s_cbranch_scc0 .LBB19_409
; %bb.406:
	s_cmp_eq_u32 s13, 15
	s_mov_b64 s[2:3], -1
	s_cbranch_scc0 .LBB19_408
; %bb.407:
	v_bfe_u32 v3, v2, 16, 1
	s_movk_i32 s2, 0x7fff
	v_add3_u32 v3, v2, v3, s2
	v_cmp_o_f32_e32 vcc, v2, v2
	v_mov_b32_e32 v4, 0x7fc0
	s_mov_b64 s[6:7], -1
	v_cndmask_b32_sdwa v3, v4, v3, vcc dst_sel:DWORD dst_unused:UNUSED_PAD src0_sel:DWORD src1_sel:WORD_1
	global_store_short v[0:1], v3, off
	s_mov_b64 s[2:3], 0
.LBB19_408:
	s_mov_b64 s[8:9], 0
.LBB19_409:
	s_and_b64 vcc, exec, s[8:9]
	s_cbranch_vccz .LBB19_412
; %bb.410:
	s_cmp_eq_u32 s13, 11
	s_mov_b64 s[2:3], -1
	s_cbranch_scc0 .LBB19_412
; %bb.411:
	v_cmp_neq_f32_e32 vcc, 0, v2
	s_mov_b64 s[6:7], -1
	s_mov_b64 s[2:3], 0
	v_cndmask_b32_e64 v3, 0, 1, vcc
	global_store_byte v[0:1], v3, off
.LBB19_412:
	s_mov_b64 s[8:9], 0
.LBB19_413:
	s_and_b64 vcc, exec, s[8:9]
	s_cbranch_vccz .LBB19_452
; %bb.414:
	s_and_b32 s8, 0xffff, s12
	s_cmp_lt_i32 s8, 5
	s_mov_b64 s[6:7], -1
	s_cbranch_scc1 .LBB19_435
; %bb.415:
	s_cmp_lt_i32 s8, 8
	s_cbranch_scc1 .LBB19_425
; %bb.416:
	s_cmp_lt_i32 s8, 9
	s_cbranch_scc1 .LBB19_422
; %bb.417:
	s_cmp_gt_i32 s8, 9
	s_cbranch_scc0 .LBB19_419
; %bb.418:
	v_mov_b32_e32 v6, 0
	v_cvt_f64_f32_e32 v[4:5], v2
	v_mov_b32_e32 v7, v6
	s_mov_b64 s[6:7], 0
	global_store_dwordx4 v[0:1], v[4:7], off
.LBB19_419:
	s_andn2_b64 vcc, exec, s[6:7]
	s_cbranch_vccnz .LBB19_421
; %bb.420:
	v_mov_b32_e32 v3, 0
	global_store_dwordx2 v[0:1], v[2:3], off
.LBB19_421:
	s_mov_b64 s[6:7], 0
.LBB19_422:
	s_andn2_b64 vcc, exec, s[6:7]
	s_cbranch_vccnz .LBB19_424
; %bb.423:
	v_cvt_f16_f32_e32 v3, v2
	global_store_dword v[0:1], v3, off
.LBB19_424:
	s_mov_b64 s[6:7], 0
.LBB19_425:
	s_andn2_b64 vcc, exec, s[6:7]
	s_cbranch_vccnz .LBB19_434
; %bb.426:
	s_cmp_lt_i32 s8, 6
	s_mov_b64 s[6:7], -1
	s_cbranch_scc1 .LBB19_432
; %bb.427:
	s_cmp_gt_i32 s8, 6
	s_cbranch_scc0 .LBB19_429
; %bb.428:
	v_cvt_f64_f32_e32 v[4:5], v2
	s_mov_b64 s[6:7], 0
	global_store_dwordx2 v[0:1], v[4:5], off
.LBB19_429:
	s_andn2_b64 vcc, exec, s[6:7]
	s_cbranch_vccnz .LBB19_431
; %bb.430:
	global_store_dword v[0:1], v2, off
.LBB19_431:
	s_mov_b64 s[6:7], 0
.LBB19_432:
	s_andn2_b64 vcc, exec, s[6:7]
	s_cbranch_vccnz .LBB19_434
; %bb.433:
	v_cvt_f16_f32_e32 v3, v2
	global_store_short v[0:1], v3, off
.LBB19_434:
	s_mov_b64 s[6:7], 0
.LBB19_435:
	s_andn2_b64 vcc, exec, s[6:7]
	s_cbranch_vccnz .LBB19_451
; %bb.436:
	s_cmp_lt_i32 s8, 2
	s_mov_b64 s[6:7], -1
	s_cbranch_scc1 .LBB19_446
; %bb.437:
	s_cmp_lt_i32 s8, 3
	s_cbranch_scc1 .LBB19_443
; %bb.438:
	s_cmp_gt_i32 s8, 3
	s_cbranch_scc0 .LBB19_440
; %bb.439:
	v_trunc_f32_e32 v3, v2
	s_mov_b32 s6, 0x2f800000
	v_mul_f32_e64 v4, |v3|, s6
	v_floor_f32_e32 v4, v4
	s_mov_b32 s6, 0xcf800000
	v_cvt_u32_f32_e32 v5, v4
	v_fma_f32 v4, v4, s6, |v3|
	v_cvt_u32_f32_e32 v4, v4
	v_ashrrev_i32_e32 v3, 31, v3
	v_xor_b32_e32 v5, v5, v3
	s_mov_b64 s[6:7], 0
	v_xor_b32_e32 v4, v4, v3
	v_sub_co_u32_e32 v4, vcc, v4, v3
	s_nop 1
	v_subb_co_u32_e32 v5, vcc, v5, v3, vcc
	global_store_dwordx2 v[0:1], v[4:5], off
.LBB19_440:
	s_andn2_b64 vcc, exec, s[6:7]
	s_cbranch_vccnz .LBB19_442
; %bb.441:
	v_cvt_i32_f32_e32 v3, v2
	global_store_dword v[0:1], v3, off
.LBB19_442:
	s_mov_b64 s[6:7], 0
.LBB19_443:
	s_andn2_b64 vcc, exec, s[6:7]
	s_cbranch_vccnz .LBB19_445
; %bb.444:
	v_cvt_i32_f32_e32 v3, v2
	global_store_short v[0:1], v3, off
.LBB19_445:
	s_mov_b64 s[6:7], 0
.LBB19_446:
	s_andn2_b64 vcc, exec, s[6:7]
	s_cbranch_vccnz .LBB19_451
; %bb.447:
	s_cmp_gt_i32 s8, 0
	s_mov_b64 s[6:7], -1
	s_cbranch_scc0 .LBB19_449
; %bb.448:
	v_cvt_i32_f32_e32 v3, v2
	s_mov_b64 s[6:7], 0
	global_store_byte v[0:1], v3, off
.LBB19_449:
	s_andn2_b64 vcc, exec, s[6:7]
	s_cbranch_vccnz .LBB19_451
; %bb.450:
	v_trunc_f32_e32 v2, v2
	s_mov_b32 s6, 0x2f800000
	v_mul_f32_e64 v3, |v2|, s6
	v_floor_f32_e32 v3, v3
	s_mov_b32 s6, 0xcf800000
	v_fma_f32 v3, v3, s6, |v2|
	v_cvt_u32_f32_e32 v3, v3
	v_ashrrev_i32_e32 v2, 31, v2
	v_xor_b32_e32 v3, v3, v2
	v_sub_u32_e32 v2, v3, v2
	global_store_byte v[0:1], v2, off
.LBB19_451:
	s_mov_b64 s[6:7], -1
.LBB19_452:
	s_andn2_b64 vcc, exec, s[6:7]
	s_cbranch_vccnz .LBB19_454
; %bb.453:
	v_add_u32_e32 v12, 0x80, v12
	s_mov_b64 s[6:7], -1
	s_branch .LBB19_567
.LBB19_454:
	s_mov_b64 s[6:7], 0
	s_branch .LBB19_566
.LBB19_455:
	s_mov_b64 s[4:5], -1
                                        ; implicit-def: $vgpr1
.LBB19_456:
	s_mov_b64 s[6:7], 0
.LBB19_457:
	s_and_b64 vcc, exec, s[6:7]
	s_cbranch_vccz .LBB19_461
; %bb.458:
	s_cmp_eq_u32 s10, 29
	s_cbranch_scc0 .LBB19_460
; %bb.459:
	global_load_dwordx2 v[4:5], v[2:3], off
	s_mov_b64 s[2:3], -1
	s_mov_b64 s[4:5], 0
	s_mov_b64 s[6:7], 0
	s_waitcnt vmcnt(0)
	v_ffbh_u32_e32 v1, v5
	v_min_u32_e32 v1, 32, v1
	v_lshlrev_b64 v[4:5], v1, v[4:5]
	v_min_u32_e32 v4, 1, v4
	v_or_b32_e32 v4, v5, v4
	v_cvt_f32_u32_e32 v4, v4
	v_sub_u32_e32 v1, 32, v1
	v_ldexp_f32 v1, v4, v1
	s_branch .LBB19_462
.LBB19_460:
	s_mov_b64 s[4:5], -1
                                        ; implicit-def: $vgpr1
.LBB19_461:
	s_mov_b64 s[6:7], 0
.LBB19_462:
	s_and_b64 vcc, exec, s[6:7]
	s_cbranch_vccz .LBB19_480
; %bb.463:
	s_cmp_lt_i32 s10, 27
	s_cbranch_scc1 .LBB19_466
; %bb.464:
	s_cmp_gt_i32 s10, 27
	s_cbranch_scc0 .LBB19_467
; %bb.465:
	global_load_dword v1, v[2:3], off
	s_mov_b64 s[2:3], 0
	s_waitcnt vmcnt(0)
	v_cvt_f32_u32_e32 v1, v1
	s_branch .LBB19_468
.LBB19_466:
	s_mov_b64 s[2:3], -1
                                        ; implicit-def: $vgpr1
	s_branch .LBB19_471
.LBB19_467:
	s_mov_b64 s[2:3], -1
                                        ; implicit-def: $vgpr1
.LBB19_468:
	s_andn2_b64 vcc, exec, s[2:3]
	s_cbranch_vccnz .LBB19_470
; %bb.469:
	global_load_ushort v1, v[2:3], off
	s_waitcnt vmcnt(0)
	v_cvt_f32_u32_e32 v1, v1
.LBB19_470:
	s_mov_b64 s[2:3], 0
.LBB19_471:
	s_andn2_b64 vcc, exec, s[2:3]
	s_cbranch_vccnz .LBB19_479
; %bb.472:
	global_load_ubyte v4, v[2:3], off
	s_movk_i32 s2, 0x7f
	s_waitcnt vmcnt(0)
	v_cmp_lt_i16_e32 vcc, s2, v4
	s_mov_b64 s[2:3], 0
	s_and_saveexec_b64 s[6:7], vcc
	s_xor_b64 s[6:7], exec, s[6:7]
	s_cbranch_execz .LBB19_493
; %bb.473:
	s_movk_i32 s2, 0x80
	v_cmp_eq_u16_e32 vcc, s2, v4
	s_mov_b64 s[2:3], -1
	s_and_saveexec_b64 s[8:9], vcc
; %bb.474:
	s_xor_b64 s[2:3], exec, -1
; %bb.475:
	s_or_b64 exec, exec, s[8:9]
	s_and_b64 s[2:3], s[2:3], exec
	s_or_saveexec_b64 s[6:7], s[6:7]
	v_mov_b32_e32 v1, 0x7f800001
	s_xor_b64 exec, exec, s[6:7]
	s_cbranch_execnz .LBB19_494
.LBB19_476:
	s_or_b64 exec, exec, s[6:7]
	s_and_saveexec_b64 s[6:7], s[2:3]
	s_cbranch_execz .LBB19_478
.LBB19_477:
	v_lshlrev_b32_e32 v1, 24, v4
	v_and_b32_e32 v4, 0xffff, v4
	v_and_b32_e32 v5, 7, v4
	v_ffbh_u32_e32 v7, v5
	v_min_u32_e32 v7, 32, v7
	v_subrev_u32_e32 v8, 28, v7
	v_bfe_u32 v6, v4, 3, 4
	v_lshlrev_b32_e32 v4, v8, v4
	v_sub_u32_e32 v7, 29, v7
	v_and_b32_e32 v4, 7, v4
	v_cmp_eq_u32_e32 vcc, 0, v6
	v_and_b32_e32 v1, 0x80000000, v1
	s_nop 0
	v_cndmask_b32_e32 v6, v6, v7, vcc
	v_cndmask_b32_e32 v4, v5, v4, vcc
	v_mov_b32_e32 v5, 0x3b800000
	v_lshlrev_b32_e32 v4, 20, v4
	v_lshl_add_u32 v5, v6, 23, v5
	v_or3_b32 v1, v1, v5, v4
.LBB19_478:
	s_or_b64 exec, exec, s[6:7]
.LBB19_479:
	s_mov_b64 s[2:3], -1
.LBB19_480:
	s_mov_b64 s[6:7], 0
.LBB19_481:
	s_and_b64 vcc, exec, s[6:7]
	s_cbranch_vccz .LBB19_516
; %bb.482:
	s_cmp_gt_i32 s10, 22
	s_cbranch_scc0 .LBB19_492
; %bb.483:
	s_cmp_lt_i32 s10, 24
	s_cbranch_scc1 .LBB19_495
; %bb.484:
	s_cmp_gt_i32 s10, 24
	s_cbranch_scc0 .LBB19_496
; %bb.485:
	global_load_ubyte v4, v[2:3], off
	s_movk_i32 s2, 0x7f
	s_waitcnt vmcnt(0)
	v_cmp_lt_i16_e32 vcc, s2, v4
	s_mov_b64 s[2:3], 0
	s_and_saveexec_b64 s[6:7], vcc
	s_xor_b64 s[6:7], exec, s[6:7]
	s_cbranch_execz .LBB19_508
; %bb.486:
	s_movk_i32 s2, 0x80
	v_cmp_eq_u16_e32 vcc, s2, v4
	s_mov_b64 s[2:3], -1
	s_and_saveexec_b64 s[8:9], vcc
; %bb.487:
	s_xor_b64 s[2:3], exec, -1
; %bb.488:
	s_or_b64 exec, exec, s[8:9]
	s_and_b64 s[2:3], s[2:3], exec
	s_or_saveexec_b64 s[6:7], s[6:7]
	v_mov_b32_e32 v1, 0x7f800001
	s_xor_b64 exec, exec, s[6:7]
	s_cbranch_execnz .LBB19_509
.LBB19_489:
	s_or_b64 exec, exec, s[6:7]
	s_and_saveexec_b64 s[6:7], s[2:3]
	s_cbranch_execz .LBB19_491
.LBB19_490:
	v_lshlrev_b32_e32 v1, 24, v4
	v_and_b32_e32 v4, 0xffff, v4
	v_and_b32_e32 v5, 3, v4
	v_ffbh_u32_e32 v7, v5
	v_min_u32_e32 v7, 32, v7
	v_subrev_u32_e32 v8, 29, v7
	v_bfe_u32 v6, v4, 2, 5
	v_lshlrev_b32_e32 v4, v8, v4
	v_sub_u32_e32 v7, 30, v7
	v_and_b32_e32 v4, 3, v4
	v_cmp_eq_u32_e32 vcc, 0, v6
	v_and_b32_e32 v1, 0x80000000, v1
	s_nop 0
	v_cndmask_b32_e32 v6, v6, v7, vcc
	v_cndmask_b32_e32 v4, v5, v4, vcc
	v_mov_b32_e32 v5, 0x37800000
	v_lshlrev_b32_e32 v4, 21, v4
	v_lshl_add_u32 v5, v6, 23, v5
	v_or3_b32 v1, v1, v5, v4
.LBB19_491:
	s_or_b64 exec, exec, s[6:7]
	s_mov_b64 s[2:3], 0
	s_branch .LBB19_497
.LBB19_492:
	s_mov_b64 s[6:7], -1
                                        ; implicit-def: $vgpr1
	s_branch .LBB19_503
.LBB19_493:
	s_or_saveexec_b64 s[6:7], s[6:7]
	v_mov_b32_e32 v1, 0x7f800001
	s_xor_b64 exec, exec, s[6:7]
	s_cbranch_execz .LBB19_476
.LBB19_494:
	v_cmp_ne_u16_e32 vcc, 0, v4
	s_andn2_b64 s[2:3], s[2:3], exec
	s_and_b64 s[8:9], vcc, exec
	v_mov_b32_e32 v1, 0
	s_or_b64 s[2:3], s[2:3], s[8:9]
	s_or_b64 exec, exec, s[6:7]
	s_and_saveexec_b64 s[6:7], s[2:3]
	s_cbranch_execnz .LBB19_477
	s_branch .LBB19_478
.LBB19_495:
	s_mov_b64 s[2:3], -1
                                        ; implicit-def: $vgpr1
	s_branch .LBB19_500
.LBB19_496:
	s_mov_b64 s[2:3], -1
                                        ; implicit-def: $vgpr1
.LBB19_497:
	s_and_b64 vcc, exec, s[2:3]
	s_cbranch_vccz .LBB19_499
; %bb.498:
	global_load_ubyte v1, v[2:3], off
	s_mov_b32 s2, 0x7f800000
	s_waitcnt vmcnt(0)
	v_lshlrev_b32_e32 v1, 24, v1
	v_and_b32_e32 v4, 0x7f000000, v1
	v_ffbh_u32_e32 v5, v4
	v_min_u32_e32 v5, 32, v5
	v_sub_u32_e64 v5, v5, 4 clamp
	v_lshlrev_b32_e32 v7, v5, v4
	v_lshlrev_b32_e32 v5, 23, v5
	v_lshrrev_b32_e32 v7, 4, v7
	v_add_u32_e32 v6, 0x1000000, v4
	v_sub_u32_e32 v5, v7, v5
	v_ashrrev_i32_e32 v6, 8, v6
	v_add_u32_e32 v5, 0x3c000000, v5
	v_and_or_b32 v5, v6, s2, v5
	v_cmp_ne_u32_e32 vcc, 0, v4
	s_brev_b32 s2, 1
	s_nop 0
	v_cndmask_b32_e32 v4, 0, v5, vcc
	v_and_or_b32 v1, v1, s2, v4
.LBB19_499:
	s_mov_b64 s[2:3], 0
.LBB19_500:
	s_andn2_b64 vcc, exec, s[2:3]
	s_cbranch_vccnz .LBB19_502
; %bb.501:
	global_load_ubyte v1, v[2:3], off
	s_movk_i32 s2, 0x7f00
	s_brev_b32 s3, 16
	s_waitcnt vmcnt(0)
	v_lshlrev_b16_e32 v4, 8, v1
	v_lshlrev_b32_e32 v1, 25, v1
	v_lshrrev_b32_e32 v5, 4, v1
	v_and_or_b32 v6, v4, s2, 0.5
	v_or_b32_e32 v5, 0x70000000, v5
	v_add_f32_e32 v6, -0.5, v6
	v_mul_f32_e32 v5, 0x7800000, v5
	v_cmp_gt_u32_e32 vcc, s3, v1
	v_bfe_i32 v4, v4, 0, 16
	s_brev_b32 s2, 1
	v_cndmask_b32_e32 v1, v5, v6, vcc
	v_and_or_b32 v1, v4, s2, v1
.LBB19_502:
	s_mov_b64 s[6:7], 0
	s_mov_b64 s[2:3], -1
.LBB19_503:
	s_andn2_b64 vcc, exec, s[6:7]
	s_cbranch_vccnz .LBB19_516
; %bb.504:
	s_cmp_gt_i32 s10, 14
	s_cbranch_scc0 .LBB19_507
; %bb.505:
	s_cmp_eq_u32 s10, 15
	s_cbranch_scc0 .LBB19_510
; %bb.506:
	global_load_ushort v1, v[2:3], off
	s_mov_b64 s[2:3], -1
	s_mov_b64 s[4:5], 0
	s_waitcnt vmcnt(0)
	v_lshlrev_b32_e32 v1, 16, v1
	s_branch .LBB19_511
.LBB19_507:
	s_mov_b64 s[6:7], -1
                                        ; implicit-def: $vgpr1
	s_branch .LBB19_512
.LBB19_508:
	s_or_saveexec_b64 s[6:7], s[6:7]
	v_mov_b32_e32 v1, 0x7f800001
	s_xor_b64 exec, exec, s[6:7]
	s_cbranch_execz .LBB19_489
.LBB19_509:
	v_cmp_ne_u16_e32 vcc, 0, v4
	s_andn2_b64 s[2:3], s[2:3], exec
	s_and_b64 s[8:9], vcc, exec
	v_mov_b32_e32 v1, 0
	s_or_b64 s[2:3], s[2:3], s[8:9]
	s_or_b64 exec, exec, s[6:7]
	s_and_saveexec_b64 s[6:7], s[2:3]
	s_cbranch_execnz .LBB19_490
	s_branch .LBB19_491
.LBB19_510:
	s_mov_b64 s[4:5], -1
                                        ; implicit-def: $vgpr1
.LBB19_511:
	s_mov_b64 s[6:7], 0
.LBB19_512:
	s_and_b64 vcc, exec, s[6:7]
	s_cbranch_vccz .LBB19_516
; %bb.513:
	s_cmp_eq_u32 s10, 11
	s_cbranch_scc0 .LBB19_515
; %bb.514:
	global_load_ubyte v1, v[2:3], off
	s_mov_b64 s[2:3], -1
	s_mov_b64 s[4:5], 0
	s_waitcnt vmcnt(0)
	v_cmp_ne_u16_e32 vcc, 0, v1
	s_nop 1
	v_cndmask_b32_e64 v1, 0, 1.0, vcc
	s_branch .LBB19_516
.LBB19_515:
	s_mov_b64 s[4:5], -1
                                        ; implicit-def: $vgpr1
.LBB19_516:
	s_branch .LBB19_307
.LBB19_517:
	s_cmp_lt_i32 s10, 5
	s_cbranch_scc1 .LBB19_522
; %bb.518:
	s_cmp_lt_i32 s10, 8
	s_cbranch_scc1 .LBB19_523
; %bb.519:
	s_cmp_lt_i32 s10, 9
	s_cbranch_scc1 .LBB19_524
; %bb.520:
	s_cmp_gt_i32 s10, 9
	s_cbranch_scc0 .LBB19_525
; %bb.521:
	global_load_dwordx2 v[4:5], v[2:3], off
	s_mov_b64 s[2:3], 0
	s_waitcnt vmcnt(0)
	v_cvt_f32_f64_e32 v1, v[4:5]
	s_branch .LBB19_526
.LBB19_522:
	s_mov_b64 s[2:3], -1
                                        ; implicit-def: $vgpr1
	s_branch .LBB19_544
.LBB19_523:
	s_mov_b64 s[2:3], -1
                                        ; implicit-def: $vgpr1
	s_branch .LBB19_532
.LBB19_524:
	s_mov_b64 s[2:3], -1
                                        ; implicit-def: $vgpr1
	s_branch .LBB19_529
.LBB19_525:
	s_mov_b64 s[2:3], -1
                                        ; implicit-def: $vgpr1
.LBB19_526:
	s_andn2_b64 vcc, exec, s[2:3]
	s_cbranch_vccnz .LBB19_528
; %bb.527:
	global_load_dword v1, v[2:3], off
.LBB19_528:
	s_mov_b64 s[2:3], 0
.LBB19_529:
	s_andn2_b64 vcc, exec, s[2:3]
	s_cbranch_vccnz .LBB19_531
; %bb.530:
	global_load_dword v1, v[2:3], off
	s_waitcnt vmcnt(0)
	v_cvt_f32_f16_e32 v1, v1
.LBB19_531:
	s_mov_b64 s[2:3], 0
.LBB19_532:
	s_andn2_b64 vcc, exec, s[2:3]
	s_cbranch_vccnz .LBB19_543
; %bb.533:
	s_cmp_lt_i32 s10, 6
	s_cbranch_scc1 .LBB19_536
; %bb.534:
	s_cmp_gt_i32 s10, 6
	s_cbranch_scc0 .LBB19_537
; %bb.535:
	global_load_dwordx2 v[4:5], v[2:3], off
	s_mov_b64 s[2:3], 0
	s_waitcnt vmcnt(0)
	v_cvt_f32_f64_e32 v1, v[4:5]
	s_branch .LBB19_538
.LBB19_536:
	s_mov_b64 s[2:3], -1
                                        ; implicit-def: $vgpr1
	s_branch .LBB19_541
.LBB19_537:
	s_mov_b64 s[2:3], -1
                                        ; implicit-def: $vgpr1
.LBB19_538:
	s_andn2_b64 vcc, exec, s[2:3]
	s_cbranch_vccnz .LBB19_540
; %bb.539:
	global_load_dword v1, v[2:3], off
.LBB19_540:
	s_mov_b64 s[2:3], 0
.LBB19_541:
	s_andn2_b64 vcc, exec, s[2:3]
	s_cbranch_vccnz .LBB19_543
; %bb.542:
	global_load_ushort v1, v[2:3], off
	s_waitcnt vmcnt(0)
	v_cvt_f32_f16_e32 v1, v1
.LBB19_543:
	s_mov_b64 s[2:3], 0
.LBB19_544:
	s_andn2_b64 vcc, exec, s[2:3]
	s_cbranch_vccnz .LBB19_564
; %bb.545:
	s_cmp_lt_i32 s10, 2
	s_cbranch_scc1 .LBB19_549
; %bb.546:
	s_cmp_lt_i32 s10, 3
	s_cbranch_scc1 .LBB19_550
; %bb.547:
	s_cmp_gt_i32 s10, 3
	s_cbranch_scc0 .LBB19_551
; %bb.548:
	global_load_dwordx2 v[4:5], v[2:3], off
	s_mov_b64 s[2:3], 0
	s_waitcnt vmcnt(0)
	v_xor_b32_e32 v6, v4, v5
	v_ffbh_i32_e32 v1, v5
	v_ashrrev_i32_e32 v6, 31, v6
	v_add_u32_e32 v1, -1, v1
	v_add_u32_e32 v6, 32, v6
	v_min_u32_e32 v1, v1, v6
	v_lshlrev_b64 v[4:5], v1, v[4:5]
	v_min_u32_e32 v4, 1, v4
	v_or_b32_e32 v4, v5, v4
	v_cvt_f32_i32_e32 v4, v4
	v_sub_u32_e32 v1, 32, v1
	v_ldexp_f32 v1, v4, v1
	s_branch .LBB19_552
.LBB19_549:
	s_mov_b64 s[2:3], -1
                                        ; implicit-def: $vgpr1
	s_branch .LBB19_558
.LBB19_550:
	s_mov_b64 s[2:3], -1
                                        ; implicit-def: $vgpr1
	s_branch .LBB19_555
.LBB19_551:
	s_mov_b64 s[2:3], -1
                                        ; implicit-def: $vgpr1
.LBB19_552:
	s_andn2_b64 vcc, exec, s[2:3]
	s_cbranch_vccnz .LBB19_554
; %bb.553:
	global_load_dword v1, v[2:3], off
	s_waitcnt vmcnt(0)
	v_cvt_f32_i32_e32 v1, v1
.LBB19_554:
	s_mov_b64 s[2:3], 0
.LBB19_555:
	s_andn2_b64 vcc, exec, s[2:3]
	s_cbranch_vccnz .LBB19_557
; %bb.556:
	global_load_sshort v1, v[2:3], off
	s_waitcnt vmcnt(0)
	v_cvt_f32_i32_e32 v1, v1
.LBB19_557:
	s_mov_b64 s[2:3], 0
.LBB19_558:
	s_andn2_b64 vcc, exec, s[2:3]
	s_cbranch_vccnz .LBB19_564
; %bb.559:
	s_cmp_gt_i32 s10, 0
	s_cbranch_scc0 .LBB19_561
; %bb.560:
	global_load_sbyte v1, v[2:3], off
	s_mov_b64 s[2:3], 0
	s_waitcnt vmcnt(0)
	v_cvt_f32_i32_e32 v1, v1
	s_branch .LBB19_562
.LBB19_561:
	s_mov_b64 s[2:3], -1
                                        ; implicit-def: $vgpr1
.LBB19_562:
	s_andn2_b64 vcc, exec, s[2:3]
	s_cbranch_vccnz .LBB19_564
; %bb.563:
	global_load_ubyte v1, v[2:3], off
	s_waitcnt vmcnt(0)
	v_cvt_f32_ubyte0_e32 v1, v1
.LBB19_564:
	s_branch .LBB19_308
.LBB19_565:
	s_mov_b64 s[6:7], 0
	s_mov_b64 s[2:3], s[54:55]
.LBB19_566:
                                        ; implicit-def: $vgpr12
.LBB19_567:
	s_andn2_b64 s[8:9], s[54:55], exec
	s_and_b64 s[2:3], s[2:3], exec
	s_or_b64 s[62:63], s[8:9], s[2:3]
	s_andn2_b64 s[2:3], s[56:57], exec
	s_and_b64 s[4:5], s[4:5], exec
	s_or_b64 s[60:61], s[2:3], s[4:5]
	s_orn2_b64 s[2:3], s[6:7], exec
.LBB19_568:
	s_or_b64 exec, exec, s[64:65]
	s_mov_b64 s[4:5], 0
	s_mov_b64 s[6:7], 0
	s_mov_b64 s[8:9], 0
                                        ; implicit-def: $vgpr2_vgpr3
                                        ; implicit-def: $vgpr0
                                        ; implicit-def: $vgpr1
	s_and_saveexec_b64 s[64:65], s[2:3]
	s_cbranch_execz .LBB19_957
; %bb.569:
	v_cmp_gt_i32_e32 vcc, s70, v12
	s_mov_b64 s[6:7], -1
	s_mov_b64 s[2:3], s[60:61]
	s_mov_b64 s[68:69], s[62:63]
	s_and_saveexec_b64 s[66:67], vcc
	s_cbranch_execz .LBB19_856
; %bb.570:
	s_andn2_b64 vcc, exec, s[42:43]
	s_cbranch_vccnz .LBB19_576
; %bb.571:
	s_andn2_b64 vcc, exec, s[52:53]
	s_cbranch_vccnz .LBB19_577
; %bb.572:
	s_add_i32 s76, s75, 1
	s_cmp_eq_u32 s72, 2
	s_cbranch_scc1 .LBB19_578
; %bb.573:
	s_and_b32 s71, s76, 28
	s_mov_b32 s77, 0
	v_mov_b32_e32 v0, 0
	v_mov_b32_e32 v2, 0
	s_mov_b64 s[2:3], s[34:35]
	s_mov_b64 s[68:69], s[50:51]
	v_mov_b32_e32 v4, v12
.LBB19_574:                             ; =>This Inner Loop Header: Depth=1
	s_load_dwordx8 s[12:19], s[2:3], 0x4
	s_load_dwordx4 s[36:39], s[2:3], 0x24
	s_load_dwordx8 s[4:11], s[68:69], 0x0
	s_add_u32 s2, s2, 48
	s_addc_u32 s3, s3, 0
	s_waitcnt vmcnt(0) lgkmcnt(0)
	v_mul_hi_u32 v1, s13, v4
	v_add_u32_e32 v1, v4, v1
	v_lshrrev_b32_e32 v1, s14, v1
	v_mul_lo_u32 v3, v1, s12
	v_mul_hi_u32 v5, s16, v1
	v_sub_u32_e32 v3, v4, v3
	v_add_u32_e32 v4, v1, v5
	v_lshrrev_b32_e32 v4, s17, v4
	v_mul_lo_u32 v6, v4, s15
	v_mul_hi_u32 v7, s19, v4
	v_sub_u32_e32 v1, v1, v6
	v_add_u32_e32 v6, v4, v7
	v_mul_lo_u32 v5, v3, s5
	v_mul_lo_u32 v3, v3, s4
	;; [unrolled: 1-line block ×4, first 2 shown]
	v_lshrrev_b32_e32 v6, s36, v6
	v_add3_u32 v0, v3, v0, v1
	v_mul_hi_u32 v3, s38, v6
	v_add3_u32 v1, v5, v2, v7
	v_mul_lo_u32 v2, v6, s18
	v_add_u32_e32 v3, v6, v3
	v_sub_u32_e32 v2, v4, v2
	v_lshrrev_b32_e32 v4, s39, v3
	s_add_i32 s77, s77, 4
	v_mul_lo_u32 v3, v4, s37
	s_add_u32 s68, s68, 32
	v_sub_u32_e32 v3, v6, v3
	s_addc_u32 s69, s69, 0
	v_mul_lo_u32 v5, v2, s8
	v_mul_lo_u32 v2, v2, s9
	;; [unrolled: 1-line block ×4, first 2 shown]
	s_cmp_eq_u32 s71, s77
	v_add3_u32 v2, v2, v1, v3
	v_add3_u32 v0, v5, v0, v6
	s_cbranch_scc0 .LBB19_574
; %bb.575:
	v_mov_b32_e32 v1, v2
	s_branch .LBB19_579
.LBB19_576:
	s_mov_b64 s[2:3], -1
                                        ; implicit-def: $vgpr2
                                        ; implicit-def: $vgpr0
	s_branch .LBB19_583
.LBB19_577:
	v_mov_b32_e32 v2, 0
	v_mov_b32_e32 v0, 0
	s_branch .LBB19_582
.LBB19_578:
	v_mov_b32_e32 v0, 0
	s_mov_b32 s71, 0
	s_waitcnt vmcnt(0)
	v_mov_b32_e32 v1, v0
                                        ; implicit-def: $vgpr2
	v_mov_b32_e32 v4, v12
.LBB19_579:
	s_and_b32 s6, s76, 3
	s_cmp_eq_u32 s6, 0
	s_cbranch_scc1 .LBB19_582
; %bb.580:
	s_lshl_b32 s2, s71, 3
	s_add_u32 s2, s34, s2
	s_addc_u32 s3, s35, 0
	s_add_u32 s2, s2, 0xc4
	s_addc_u32 s3, s3, 0
	s_mul_i32 s4, s71, 12
	s_add_u32 s4, s34, s4
	s_addc_u32 s5, s35, 0
.LBB19_581:                             ; =>This Inner Loop Header: Depth=1
	s_load_dwordx2 s[8:9], s[4:5], 0x4
	s_load_dword s7, s[4:5], 0xc
	s_load_dwordx2 s[10:11], s[2:3], 0x0
	v_mov_b32_e32 v2, v1
	s_add_u32 s4, s4, 12
	s_waitcnt lgkmcnt(0)
	v_mul_hi_u32 v1, s9, v4
	v_add_u32_e32 v1, v4, v1
	v_lshrrev_b32_e32 v1, s7, v1
	s_addc_u32 s5, s5, 0
	v_mul_lo_u32 v3, v1, s8
	s_add_u32 s2, s2, 8
	v_sub_u32_e32 v5, v4, v3
	s_addc_u32 s3, s3, 0
	s_add_i32 s6, s6, -1
	v_mov_b32_e32 v4, v1
	v_mad_u64_u32 v[2:3], s[8:9], v5, s11, v[2:3]
	v_mad_u64_u32 v[0:1], s[8:9], v5, s10, v[0:1]
	s_cmp_lg_u32 s6, 0
	v_mov_b32_e32 v1, v2
	s_cbranch_scc1 .LBB19_581
.LBB19_582:
	s_mov_b64 s[2:3], 0
.LBB19_583:
	s_andn2_b64 vcc, exec, s[2:3]
	s_cbranch_vccnz .LBB19_586
; %bb.584:
	s_waitcnt lgkmcnt(0)
	v_mul_hi_u32 v0, s29, v12
	v_add_u32_e32 v0, v12, v0
	s_waitcnt vmcnt(0)
	v_lshrrev_b32_e32 v1, s30, v0
	v_mul_lo_u32 v0, v1, s28
	v_sub_u32_e32 v0, v12, v0
	v_mul_lo_u32 v2, v0, s25
	s_andn2_b64 vcc, exec, s[48:49]
	v_mul_lo_u32 v0, v0, s24
	s_cbranch_vccnz .LBB19_586
; %bb.585:
	v_mul_hi_u32 v3, s46, v1
	v_add_u32_e32 v3, v1, v3
	v_lshrrev_b32_e32 v3, s47, v3
	v_mul_lo_u32 v3, v3, s31
	v_sub_u32_e32 v3, v1, v3
	v_mad_u64_u32 v[0:1], s[2:3], v3, s26, v[0:1]
	v_mad_u64_u32 v[2:3], s[2:3], v3, s27, v[2:3]
.LBB19_586:
	v_mov_b32_e32 v3, 0
	s_and_b32 s10, 0xffff, s74
	s_cmp_lt_i32 s10, 11
	s_waitcnt lgkmcnt(0)
	v_lshl_add_u64 v[2:3], s[22:23], 0, v[2:3]
	s_cbranch_scc1 .LBB19_593
; %bb.587:
	s_cmp_gt_i32 s10, 25
	s_cbranch_scc0 .LBB19_594
; %bb.588:
	s_cmp_gt_i32 s10, 28
	s_cbranch_scc0 .LBB19_595
	;; [unrolled: 3-line block ×4, first 2 shown]
; %bb.591:
	s_cmp_eq_u32 s10, 46
	s_mov_b64 s[6:7], 0
	s_cbranch_scc0 .LBB19_602
; %bb.592:
	global_load_dword v1, v[2:3], off
	s_mov_b64 s[2:3], -1
	s_mov_b64 s[4:5], 0
	s_waitcnt vmcnt(0)
	v_lshlrev_b32_e32 v1, 16, v1
	s_branch .LBB19_603
.LBB19_593:
	s_mov_b64 s[6:7], -1
	s_mov_b64 s[2:3], 0
                                        ; implicit-def: $vgpr1
	s_mov_b64 s[4:5], s[60:61]
	s_branch .LBB19_668
.LBB19_594:
	s_mov_b64 s[6:7], -1
	s_mov_b64 s[2:3], 0
	s_mov_b64 s[4:5], s[60:61]
                                        ; implicit-def: $vgpr1
	s_branch .LBB19_632
.LBB19_595:
	s_mov_b64 s[6:7], -1
	s_mov_b64 s[2:3], 0
	s_mov_b64 s[4:5], s[60:61]
                                        ; implicit-def: $vgpr1
	s_branch .LBB19_613
.LBB19_596:
	s_mov_b64 s[6:7], -1
	s_mov_b64 s[2:3], 0
	s_mov_b64 s[4:5], s[60:61]
                                        ; implicit-def: $vgpr1
	s_branch .LBB19_608
.LBB19_597:
	s_andn2_saveexec_b64 s[10:11], s[10:11]
	s_cbranch_execz .LBB19_365
.LBB19_598:
	s_mov_b32 s14, 0x46000000
	v_add_f32_e64 v3, |v2|, s14
	v_and_b32_e32 v3, 0xff, v3
	v_cmp_ne_u32_e32 vcc, 0, v3
	s_andn2_b64 s[8:9], s[8:9], exec
	s_and_b64 s[14:15], vcc, exec
	s_or_b64 s[8:9], s[8:9], s[14:15]
	s_or_b64 exec, exec, s[10:11]
	v_mov_b32_e32 v4, 0
	s_and_saveexec_b64 s[10:11], s[8:9]
	s_cbranch_execnz .LBB19_366
	s_branch .LBB19_367
.LBB19_599:
	s_mov_b64 s[6:7], -1
	s_mov_b64 s[2:3], 0
	s_mov_b64 s[4:5], s[60:61]
                                        ; implicit-def: $vgpr1
	s_branch .LBB19_603
.LBB19_600:
	s_andn2_saveexec_b64 s[10:11], s[10:11]
	s_cbranch_execz .LBB19_378
.LBB19_601:
	s_mov_b32 s14, 0x42800000
	v_add_f32_e64 v3, |v2|, s14
	v_and_b32_e32 v3, 0xff, v3
	v_cmp_ne_u32_e32 vcc, 0, v3
	s_andn2_b64 s[8:9], s[8:9], exec
	s_and_b64 s[14:15], vcc, exec
	s_or_b64 s[8:9], s[8:9], s[14:15]
	s_or_b64 exec, exec, s[10:11]
	v_mov_b32_e32 v4, 0
	s_and_saveexec_b64 s[10:11], s[8:9]
	s_cbranch_execnz .LBB19_379
	s_branch .LBB19_380
.LBB19_602:
	s_mov_b64 s[4:5], -1
                                        ; implicit-def: $vgpr1
	s_mov_b64 s[2:3], 0
.LBB19_603:
	s_and_b64 vcc, exec, s[6:7]
	s_cbranch_vccz .LBB19_607
; %bb.604:
	s_cmp_eq_u32 s10, 44
	s_cbranch_scc0 .LBB19_606
; %bb.605:
	global_load_ubyte v1, v[2:3], off
	s_movk_i32 s4, 0xff
	v_mov_b32_e32 v4, 0x7f800001
	v_mov_b32_e32 v5, 0x400000
	s_mov_b64 s[2:3], -1
	s_waitcnt vmcnt(0)
	v_lshlrev_b32_e32 v6, 23, v1
	v_cmp_ne_u32_e32 vcc, s4, v1
	s_mov_b64 s[4:5], 0
	s_nop 0
	v_cndmask_b32_e32 v4, v4, v6, vcc
	v_cmp_ne_u32_e32 vcc, 0, v1
	s_nop 1
	v_cndmask_b32_e32 v1, v5, v4, vcc
	s_branch .LBB19_607
.LBB19_606:
	s_mov_b64 s[4:5], -1
                                        ; implicit-def: $vgpr1
.LBB19_607:
	s_mov_b64 s[6:7], 0
.LBB19_608:
	s_and_b64 vcc, exec, s[6:7]
	s_cbranch_vccz .LBB19_612
; %bb.609:
	s_cmp_eq_u32 s10, 29
	s_cbranch_scc0 .LBB19_611
; %bb.610:
	global_load_dwordx2 v[4:5], v[2:3], off
	s_mov_b64 s[2:3], -1
	s_mov_b64 s[4:5], 0
	s_mov_b64 s[6:7], 0
	s_waitcnt vmcnt(0)
	v_ffbh_u32_e32 v1, v5
	v_min_u32_e32 v1, 32, v1
	v_lshlrev_b64 v[4:5], v1, v[4:5]
	v_min_u32_e32 v4, 1, v4
	v_or_b32_e32 v4, v5, v4
	v_cvt_f32_u32_e32 v4, v4
	v_sub_u32_e32 v1, 32, v1
	v_ldexp_f32 v1, v4, v1
	s_branch .LBB19_613
.LBB19_611:
	s_mov_b64 s[4:5], -1
                                        ; implicit-def: $vgpr1
.LBB19_612:
	s_mov_b64 s[6:7], 0
.LBB19_613:
	s_and_b64 vcc, exec, s[6:7]
	s_cbranch_vccz .LBB19_631
; %bb.614:
	s_cmp_lt_i32 s10, 27
	s_cbranch_scc1 .LBB19_617
; %bb.615:
	s_cmp_gt_i32 s10, 27
	s_cbranch_scc0 .LBB19_618
; %bb.616:
	global_load_dword v1, v[2:3], off
	s_mov_b64 s[2:3], 0
	s_waitcnt vmcnt(0)
	v_cvt_f32_u32_e32 v1, v1
	s_branch .LBB19_619
.LBB19_617:
	s_mov_b64 s[2:3], -1
                                        ; implicit-def: $vgpr1
	s_branch .LBB19_622
.LBB19_618:
	s_mov_b64 s[2:3], -1
                                        ; implicit-def: $vgpr1
.LBB19_619:
	s_andn2_b64 vcc, exec, s[2:3]
	s_cbranch_vccnz .LBB19_621
; %bb.620:
	global_load_ushort v1, v[2:3], off
	s_waitcnt vmcnt(0)
	v_cvt_f32_u32_e32 v1, v1
.LBB19_621:
	s_mov_b64 s[2:3], 0
.LBB19_622:
	s_andn2_b64 vcc, exec, s[2:3]
	s_cbranch_vccnz .LBB19_630
; %bb.623:
	global_load_ubyte v4, v[2:3], off
	s_movk_i32 s2, 0x7f
	s_waitcnt vmcnt(0)
	v_cmp_lt_i16_e32 vcc, s2, v4
	s_mov_b64 s[2:3], 0
	s_and_saveexec_b64 s[6:7], vcc
	s_xor_b64 s[6:7], exec, s[6:7]
	s_cbranch_execz .LBB19_644
; %bb.624:
	s_movk_i32 s2, 0x80
	v_cmp_eq_u16_e32 vcc, s2, v4
	s_mov_b64 s[2:3], -1
	s_and_saveexec_b64 s[8:9], vcc
; %bb.625:
	s_xor_b64 s[2:3], exec, -1
; %bb.626:
	s_or_b64 exec, exec, s[8:9]
	s_and_b64 s[2:3], s[2:3], exec
	s_or_saveexec_b64 s[6:7], s[6:7]
	v_mov_b32_e32 v1, 0x7f800001
	s_xor_b64 exec, exec, s[6:7]
	s_cbranch_execnz .LBB19_645
.LBB19_627:
	s_or_b64 exec, exec, s[6:7]
	s_and_saveexec_b64 s[6:7], s[2:3]
	s_cbranch_execz .LBB19_629
.LBB19_628:
	v_lshlrev_b32_e32 v1, 24, v4
	v_and_b32_e32 v4, 0xffff, v4
	v_and_b32_e32 v5, 7, v4
	v_ffbh_u32_e32 v7, v5
	v_min_u32_e32 v7, 32, v7
	v_subrev_u32_e32 v8, 28, v7
	v_bfe_u32 v6, v4, 3, 4
	v_lshlrev_b32_e32 v4, v8, v4
	v_sub_u32_e32 v7, 29, v7
	v_and_b32_e32 v4, 7, v4
	v_cmp_eq_u32_e32 vcc, 0, v6
	v_and_b32_e32 v1, 0x80000000, v1
	s_nop 0
	v_cndmask_b32_e32 v6, v6, v7, vcc
	v_cndmask_b32_e32 v4, v5, v4, vcc
	v_mov_b32_e32 v5, 0x3b800000
	v_lshlrev_b32_e32 v4, 20, v4
	v_lshl_add_u32 v5, v6, 23, v5
	v_or3_b32 v1, v1, v5, v4
.LBB19_629:
	s_or_b64 exec, exec, s[6:7]
.LBB19_630:
	s_mov_b64 s[2:3], -1
.LBB19_631:
	s_mov_b64 s[6:7], 0
.LBB19_632:
	s_and_b64 vcc, exec, s[6:7]
	s_cbranch_vccz .LBB19_667
; %bb.633:
	s_cmp_gt_i32 s10, 22
	s_cbranch_scc0 .LBB19_643
; %bb.634:
	s_cmp_lt_i32 s10, 24
	s_cbranch_scc1 .LBB19_646
; %bb.635:
	s_cmp_gt_i32 s10, 24
	s_cbranch_scc0 .LBB19_647
; %bb.636:
	global_load_ubyte v4, v[2:3], off
	s_movk_i32 s2, 0x7f
	s_waitcnt vmcnt(0)
	v_cmp_lt_i16_e32 vcc, s2, v4
	s_mov_b64 s[2:3], 0
	s_and_saveexec_b64 s[6:7], vcc
	s_xor_b64 s[6:7], exec, s[6:7]
	s_cbranch_execz .LBB19_659
; %bb.637:
	s_movk_i32 s2, 0x80
	v_cmp_eq_u16_e32 vcc, s2, v4
	s_mov_b64 s[2:3], -1
	s_and_saveexec_b64 s[8:9], vcc
; %bb.638:
	s_xor_b64 s[2:3], exec, -1
; %bb.639:
	s_or_b64 exec, exec, s[8:9]
	s_and_b64 s[2:3], s[2:3], exec
	s_or_saveexec_b64 s[6:7], s[6:7]
	v_mov_b32_e32 v1, 0x7f800001
	s_xor_b64 exec, exec, s[6:7]
	s_cbranch_execnz .LBB19_660
.LBB19_640:
	s_or_b64 exec, exec, s[6:7]
	s_and_saveexec_b64 s[6:7], s[2:3]
	s_cbranch_execz .LBB19_642
.LBB19_641:
	v_lshlrev_b32_e32 v1, 24, v4
	v_and_b32_e32 v4, 0xffff, v4
	v_and_b32_e32 v5, 3, v4
	v_ffbh_u32_e32 v7, v5
	v_min_u32_e32 v7, 32, v7
	v_subrev_u32_e32 v8, 29, v7
	v_bfe_u32 v6, v4, 2, 5
	v_lshlrev_b32_e32 v4, v8, v4
	v_sub_u32_e32 v7, 30, v7
	v_and_b32_e32 v4, 3, v4
	v_cmp_eq_u32_e32 vcc, 0, v6
	v_and_b32_e32 v1, 0x80000000, v1
	s_nop 0
	v_cndmask_b32_e32 v6, v6, v7, vcc
	v_cndmask_b32_e32 v4, v5, v4, vcc
	v_mov_b32_e32 v5, 0x37800000
	v_lshlrev_b32_e32 v4, 21, v4
	v_lshl_add_u32 v5, v6, 23, v5
	v_or3_b32 v1, v1, v5, v4
.LBB19_642:
	s_or_b64 exec, exec, s[6:7]
	s_mov_b64 s[2:3], 0
	s_branch .LBB19_648
.LBB19_643:
	s_mov_b64 s[6:7], -1
                                        ; implicit-def: $vgpr1
	s_branch .LBB19_654
.LBB19_644:
	s_or_saveexec_b64 s[6:7], s[6:7]
	v_mov_b32_e32 v1, 0x7f800001
	s_xor_b64 exec, exec, s[6:7]
	s_cbranch_execz .LBB19_627
.LBB19_645:
	v_cmp_ne_u16_e32 vcc, 0, v4
	s_andn2_b64 s[2:3], s[2:3], exec
	s_and_b64 s[8:9], vcc, exec
	v_mov_b32_e32 v1, 0
	s_or_b64 s[2:3], s[2:3], s[8:9]
	s_or_b64 exec, exec, s[6:7]
	s_and_saveexec_b64 s[6:7], s[2:3]
	s_cbranch_execnz .LBB19_628
	s_branch .LBB19_629
.LBB19_646:
	s_mov_b64 s[2:3], -1
                                        ; implicit-def: $vgpr1
	s_branch .LBB19_651
.LBB19_647:
	s_mov_b64 s[2:3], -1
                                        ; implicit-def: $vgpr1
.LBB19_648:
	s_and_b64 vcc, exec, s[2:3]
	s_cbranch_vccz .LBB19_650
; %bb.649:
	global_load_ubyte v1, v[2:3], off
	s_mov_b32 s2, 0x7f800000
	s_waitcnt vmcnt(0)
	v_lshlrev_b32_e32 v1, 24, v1
	v_and_b32_e32 v4, 0x7f000000, v1
	v_ffbh_u32_e32 v5, v4
	v_min_u32_e32 v5, 32, v5
	v_sub_u32_e64 v5, v5, 4 clamp
	v_lshlrev_b32_e32 v7, v5, v4
	v_lshlrev_b32_e32 v5, 23, v5
	v_lshrrev_b32_e32 v7, 4, v7
	v_add_u32_e32 v6, 0x1000000, v4
	v_sub_u32_e32 v5, v7, v5
	v_ashrrev_i32_e32 v6, 8, v6
	v_add_u32_e32 v5, 0x3c000000, v5
	v_and_or_b32 v5, v6, s2, v5
	v_cmp_ne_u32_e32 vcc, 0, v4
	s_brev_b32 s2, 1
	s_nop 0
	v_cndmask_b32_e32 v4, 0, v5, vcc
	v_and_or_b32 v1, v1, s2, v4
.LBB19_650:
	s_mov_b64 s[2:3], 0
.LBB19_651:
	s_andn2_b64 vcc, exec, s[2:3]
	s_cbranch_vccnz .LBB19_653
; %bb.652:
	global_load_ubyte v1, v[2:3], off
	s_movk_i32 s2, 0x7f00
	s_brev_b32 s3, 16
	s_waitcnt vmcnt(0)
	v_lshlrev_b16_e32 v4, 8, v1
	v_lshlrev_b32_e32 v1, 25, v1
	v_lshrrev_b32_e32 v5, 4, v1
	v_and_or_b32 v6, v4, s2, 0.5
	v_or_b32_e32 v5, 0x70000000, v5
	v_add_f32_e32 v6, -0.5, v6
	v_mul_f32_e32 v5, 0x7800000, v5
	v_cmp_gt_u32_e32 vcc, s3, v1
	v_bfe_i32 v4, v4, 0, 16
	s_brev_b32 s2, 1
	v_cndmask_b32_e32 v1, v5, v6, vcc
	v_and_or_b32 v1, v4, s2, v1
.LBB19_653:
	s_mov_b64 s[6:7], 0
	s_mov_b64 s[2:3], -1
.LBB19_654:
	s_andn2_b64 vcc, exec, s[6:7]
	s_cbranch_vccnz .LBB19_667
; %bb.655:
	s_cmp_gt_i32 s10, 14
	s_cbranch_scc0 .LBB19_658
; %bb.656:
	s_cmp_eq_u32 s10, 15
	s_cbranch_scc0 .LBB19_661
; %bb.657:
	global_load_ushort v1, v[2:3], off
	s_mov_b64 s[2:3], -1
	s_mov_b64 s[4:5], 0
	s_waitcnt vmcnt(0)
	v_lshlrev_b32_e32 v1, 16, v1
	s_branch .LBB19_662
.LBB19_658:
	s_mov_b64 s[6:7], -1
                                        ; implicit-def: $vgpr1
	s_branch .LBB19_663
.LBB19_659:
	s_or_saveexec_b64 s[6:7], s[6:7]
	v_mov_b32_e32 v1, 0x7f800001
	s_xor_b64 exec, exec, s[6:7]
	s_cbranch_execz .LBB19_640
.LBB19_660:
	v_cmp_ne_u16_e32 vcc, 0, v4
	s_andn2_b64 s[2:3], s[2:3], exec
	s_and_b64 s[8:9], vcc, exec
	v_mov_b32_e32 v1, 0
	s_or_b64 s[2:3], s[2:3], s[8:9]
	s_or_b64 exec, exec, s[6:7]
	s_and_saveexec_b64 s[6:7], s[2:3]
	s_cbranch_execnz .LBB19_641
	s_branch .LBB19_642
.LBB19_661:
	s_mov_b64 s[4:5], -1
                                        ; implicit-def: $vgpr1
.LBB19_662:
	s_mov_b64 s[6:7], 0
.LBB19_663:
	s_and_b64 vcc, exec, s[6:7]
	s_cbranch_vccz .LBB19_667
; %bb.664:
	s_cmp_eq_u32 s10, 11
	s_cbranch_scc0 .LBB19_666
; %bb.665:
	global_load_ubyte v1, v[2:3], off
	s_mov_b64 s[2:3], -1
	s_mov_b64 s[4:5], 0
	s_waitcnt vmcnt(0)
	v_cmp_ne_u16_e32 vcc, 0, v1
	s_nop 1
	v_cndmask_b32_e64 v1, 0, 1.0, vcc
	s_branch .LBB19_667
.LBB19_666:
	s_mov_b64 s[4:5], -1
                                        ; implicit-def: $vgpr1
.LBB19_667:
	s_mov_b64 s[6:7], 0
.LBB19_668:
	s_and_b64 vcc, exec, s[6:7]
	s_cbranch_vccz .LBB19_717
; %bb.669:
	s_cmp_lt_i32 s10, 5
	s_cbranch_scc1 .LBB19_674
; %bb.670:
	s_cmp_lt_i32 s10, 8
	s_cbranch_scc1 .LBB19_675
	;; [unrolled: 3-line block ×3, first 2 shown]
; %bb.672:
	s_cmp_gt_i32 s10, 9
	s_cbranch_scc0 .LBB19_677
; %bb.673:
	global_load_dwordx2 v[4:5], v[2:3], off
	s_mov_b64 s[2:3], 0
	s_waitcnt vmcnt(0)
	v_cvt_f32_f64_e32 v1, v[4:5]
	s_branch .LBB19_678
.LBB19_674:
	s_mov_b64 s[2:3], -1
                                        ; implicit-def: $vgpr1
	s_branch .LBB19_696
.LBB19_675:
	s_mov_b64 s[2:3], -1
                                        ; implicit-def: $vgpr1
	s_branch .LBB19_684
.LBB19_676:
	s_mov_b64 s[2:3], -1
                                        ; implicit-def: $vgpr1
	s_branch .LBB19_681
.LBB19_677:
	s_mov_b64 s[2:3], -1
                                        ; implicit-def: $vgpr1
.LBB19_678:
	s_andn2_b64 vcc, exec, s[2:3]
	s_cbranch_vccnz .LBB19_680
; %bb.679:
	global_load_dword v1, v[2:3], off
.LBB19_680:
	s_mov_b64 s[2:3], 0
.LBB19_681:
	s_andn2_b64 vcc, exec, s[2:3]
	s_cbranch_vccnz .LBB19_683
; %bb.682:
	global_load_dword v1, v[2:3], off
	s_waitcnt vmcnt(0)
	v_cvt_f32_f16_e32 v1, v1
.LBB19_683:
	s_mov_b64 s[2:3], 0
.LBB19_684:
	s_andn2_b64 vcc, exec, s[2:3]
	s_cbranch_vccnz .LBB19_695
; %bb.685:
	s_cmp_lt_i32 s10, 6
	s_cbranch_scc1 .LBB19_688
; %bb.686:
	s_cmp_gt_i32 s10, 6
	s_cbranch_scc0 .LBB19_689
; %bb.687:
	global_load_dwordx2 v[4:5], v[2:3], off
	s_mov_b64 s[2:3], 0
	s_waitcnt vmcnt(0)
	v_cvt_f32_f64_e32 v1, v[4:5]
	s_branch .LBB19_690
.LBB19_688:
	s_mov_b64 s[2:3], -1
                                        ; implicit-def: $vgpr1
	s_branch .LBB19_693
.LBB19_689:
	s_mov_b64 s[2:3], -1
                                        ; implicit-def: $vgpr1
.LBB19_690:
	s_andn2_b64 vcc, exec, s[2:3]
	s_cbranch_vccnz .LBB19_692
; %bb.691:
	global_load_dword v1, v[2:3], off
.LBB19_692:
	s_mov_b64 s[2:3], 0
.LBB19_693:
	s_andn2_b64 vcc, exec, s[2:3]
	s_cbranch_vccnz .LBB19_695
; %bb.694:
	global_load_ushort v1, v[2:3], off
	s_waitcnt vmcnt(0)
	v_cvt_f32_f16_e32 v1, v1
.LBB19_695:
	s_mov_b64 s[2:3], 0
.LBB19_696:
	s_andn2_b64 vcc, exec, s[2:3]
	s_cbranch_vccnz .LBB19_716
; %bb.697:
	s_cmp_lt_i32 s10, 2
	s_cbranch_scc1 .LBB19_701
; %bb.698:
	s_cmp_lt_i32 s10, 3
	s_cbranch_scc1 .LBB19_702
; %bb.699:
	s_cmp_gt_i32 s10, 3
	s_cbranch_scc0 .LBB19_703
; %bb.700:
	global_load_dwordx2 v[4:5], v[2:3], off
	s_mov_b64 s[2:3], 0
	s_waitcnt vmcnt(0)
	v_xor_b32_e32 v6, v4, v5
	v_ffbh_i32_e32 v1, v5
	v_ashrrev_i32_e32 v6, 31, v6
	v_add_u32_e32 v1, -1, v1
	v_add_u32_e32 v6, 32, v6
	v_min_u32_e32 v1, v1, v6
	v_lshlrev_b64 v[4:5], v1, v[4:5]
	v_min_u32_e32 v4, 1, v4
	v_or_b32_e32 v4, v5, v4
	v_cvt_f32_i32_e32 v4, v4
	v_sub_u32_e32 v1, 32, v1
	v_ldexp_f32 v1, v4, v1
	s_branch .LBB19_704
.LBB19_701:
	s_mov_b64 s[2:3], -1
                                        ; implicit-def: $vgpr1
	s_branch .LBB19_710
.LBB19_702:
	s_mov_b64 s[2:3], -1
                                        ; implicit-def: $vgpr1
	s_branch .LBB19_707
.LBB19_703:
	s_mov_b64 s[2:3], -1
                                        ; implicit-def: $vgpr1
.LBB19_704:
	s_andn2_b64 vcc, exec, s[2:3]
	s_cbranch_vccnz .LBB19_706
; %bb.705:
	global_load_dword v1, v[2:3], off
	s_waitcnt vmcnt(0)
	v_cvt_f32_i32_e32 v1, v1
.LBB19_706:
	s_mov_b64 s[2:3], 0
.LBB19_707:
	s_andn2_b64 vcc, exec, s[2:3]
	s_cbranch_vccnz .LBB19_709
; %bb.708:
	global_load_sshort v1, v[2:3], off
	s_waitcnt vmcnt(0)
	v_cvt_f32_i32_e32 v1, v1
.LBB19_709:
	s_mov_b64 s[2:3], 0
.LBB19_710:
	s_andn2_b64 vcc, exec, s[2:3]
	s_cbranch_vccnz .LBB19_716
; %bb.711:
	s_cmp_gt_i32 s10, 0
	s_cbranch_scc0 .LBB19_713
; %bb.712:
	global_load_sbyte v1, v[2:3], off
	s_mov_b64 s[2:3], 0
	s_waitcnt vmcnt(0)
	v_cvt_f32_i32_e32 v1, v1
	s_branch .LBB19_714
.LBB19_713:
	s_mov_b64 s[2:3], -1
                                        ; implicit-def: $vgpr1
.LBB19_714:
	s_andn2_b64 vcc, exec, s[2:3]
	s_cbranch_vccnz .LBB19_716
; %bb.715:
	global_load_ubyte v1, v[2:3], off
	s_waitcnt vmcnt(0)
	v_cvt_f32_ubyte0_e32 v1, v1
.LBB19_716:
	s_mov_b64 s[2:3], -1
.LBB19_717:
	s_andn2_b64 vcc, exec, s[2:3]
	s_cbranch_vccnz .LBB19_737
; %bb.718:
	s_mov_b32 s2, 0x41000000
	s_waitcnt vmcnt(0)
	v_cmp_le_f32_e64 s[2:3], |v1|, s2
                                        ; implicit-def: $vgpr2
	s_and_saveexec_b64 s[6:7], s[2:3]
	s_xor_b64 s[6:7], exec, s[6:7]
	s_cbranch_execz .LBB19_724
; %bb.719:
	v_fma_f32 v2, |v1|, 0.5, -2.0
	v_mov_b32_e32 v3, 0xa3c2be86
	v_fmac_f32_e32 v3, 0x224cf950, v2
	v_fmaak_f32 v4, v2, v3, 0xa24cf950
	v_add_f32_e32 v4, 0x25331f1f, v4
	v_fma_f32 v3, v2, v4, -v3
	v_add_f32_e32 v3, 0xa69f5554, v3
	v_fma_f32 v4, v2, v3, -v4
	;; [unrolled: 2-line block ×25, first 2 shown]
	v_add_f32_e32 v3, 0xbe34a688, v3
	s_mov_b32 s2, 0x3fb8aa3b
	v_fma_f32 v2, v2, v3, -v4
	v_mul_f32_e64 v3, |v1|, s2
	v_rndne_f32_e32 v5, v3
	v_sub_f32_e32 v6, v3, v5
	v_fma_f32 v3, |v1|, s2, -v3
	s_mov_b32 s2, 0x32a5705f
	v_fma_f32 v3, |v1|, s2, v3
	v_add_f32_e32 v3, v6, v3
	v_exp_f32_e32 v6, v3
	v_cvt_i32_f32_e32 v5, v5
	v_add_f32_e32 v2, 0x3e81531c, v2
	v_sub_f32_e32 v2, v2, v4
	v_mul_f32_e32 v2, 0.5, v2
	s_mov_b32 s2, 0xc2ce8ed0
	v_mul_f32_e64 v3, |v1|, v2
	v_ldexp_f32 v2, v6, v5
	v_cmp_nlt_f32_e64 s[2:3], |v1|, s2
	v_mov_b32_e32 v4, 0x7f800000
	v_cmp_ngt_f32_e32 vcc, 0, v1
	v_cndmask_b32_e64 v2, 0, v2, s[2:3]
	s_mov_b32 s2, 0x42b17218
	v_cmp_ngt_f32_e64 s[2:3], |v1|, s2
	s_nop 1
	v_cndmask_b32_e64 v1, v4, v2, s[2:3]
                                        ; implicit-def: $vgpr2
	s_and_saveexec_b64 s[2:3], vcc
	s_xor_b64 s[2:3], exec, s[2:3]
; %bb.720:
	v_mul_f32_e32 v2, v1, v3
                                        ; implicit-def: $vgpr1
                                        ; implicit-def: $vgpr3
; %bb.721:
	s_andn2_saveexec_b64 s[2:3], s[2:3]
; %bb.722:
	v_mul_f32_e64 v2, v3, -v1
; %bb.723:
	s_or_b64 exec, exec, s[2:3]
                                        ; implicit-def: $vgpr1
.LBB19_724:
	s_andn2_saveexec_b64 s[6:7], s[6:7]
	s_cbranch_execz .LBB19_730
; %bb.725:
	v_and_b32_e32 v2, 0x7fffffff, v1
	s_mov_b32 s8, 0x42000000
	v_div_scale_f32 v3, s[2:3], v2, v2, s8
	v_rcp_f32_e32 v4, v3
	v_div_scale_f32 v2, vcc, s8, v2, s8
	s_mov_b32 s2, 0x3fb8aa3b
	v_fma_f32 v5, -v3, v4, 1.0
	v_fmac_f32_e32 v4, v5, v4
	v_mul_f32_e32 v5, v2, v4
	v_fma_f32 v6, -v3, v5, v2
	v_fmac_f32_e32 v5, v6, v4
	v_fma_f32 v2, -v3, v5, v2
	v_div_fmas_f32 v2, v2, v4, v5
	v_div_fixup_f32 v2, v2, |v1|, s8
	v_add_f32_e32 v2, -2.0, v2
	v_mov_b32_e32 v3, 0x22a2dc57
	v_fmac_f32_e32 v3, 0x230aab6e, v2
	v_fmaak_f32 v4, v2, v3, 0xa30aab6e
	v_add_f32_e32 v4, 0xa456751e, v4
	v_fma_f32 v3, v2, v4, -v3
	v_add_f32_e32 v3, 0xa4140365, v3
	v_fma_f32 v4, v2, v3, -v4
	;; [unrolled: 2-line block ×17, first 2 shown]
	v_add_f32_e32 v3, 0xb2e20a9d, v3
	v_mul_f32_e64 v5, |v1|, s2
	v_fma_f32 v4, v2, v3, -v4
	v_rndne_f32_e32 v6, v5
	v_add_f32_e32 v4, 0xb486dfe9, v4
	v_sub_f32_e32 v7, v5, v6
	v_fma_f32 v5, |v1|, s2, -v5
	s_mov_b32 s2, 0x32a5705f
	v_fma_f32 v3, v2, v4, -v3
	v_fma_f32 v5, |v1|, s2, v5
	v_add_f32_e32 v3, 0xb68246fa, v3
	v_add_f32_e32 v5, v7, v5
	v_fma_f32 v4, v2, v3, -v4
	v_exp_f32_e32 v5, v5
	v_cvt_i32_f32_e32 v6, v6
	v_add_f32_e32 v4, 0xb8e7ebfc, v4
	v_fma_f32 v3, v2, v4, -v3
	v_add_f32_e32 v3, 0xbc1fed03, v3
	s_mov_b32 s2, 0xc2ce8ed0
	v_fma_f32 v2, v2, v3, -v4
	v_ldexp_f32 v3, v5, v6
	v_cmp_nlt_f32_e64 s[2:3], |v1|, s2
	v_add_f32_e32 v2, 0x3f4750c6, v2
	v_mov_b32_e32 v5, 0x7f800000
	v_cndmask_b32_e64 v3, 0, v3, s[2:3]
	s_mov_b32 s2, 0x42b17218
	v_cmp_ngt_f32_e64 s[2:3], |v1|, s2
	v_cmp_ngt_f32_e32 vcc, 0, v1
	v_sub_f32_e32 v4, v2, v4
	v_cndmask_b32_e64 v3, v5, v3, s[2:3]
                                        ; implicit-def: $vgpr2
	s_and_saveexec_b64 s[2:3], vcc
	s_xor_b64 s[8:9], exec, s[2:3]
	s_cbranch_execz .LBB19_727
; %bb.726:
	s_mov_b32 s2, 0xf800000
	s_mov_b32 s3, 0x4f800000
	v_mul_f32_e64 v2, |v1|, s3
	v_cmp_lt_f32_e64 vcc, |v1|, s2
	v_mul_f32_e32 v4, 0.5, v4
	v_mul_f32_e32 v3, v3, v4
	v_cndmask_b32_e64 v1, |v1|, v2, vcc
	v_sqrt_f32_e32 v2, v1
	s_nop 0
	v_add_u32_e32 v4, -1, v2
	v_fma_f32 v5, -v4, v2, v1
	v_cmp_ge_f32_e64 s[2:3], 0, v5
	v_add_u32_e32 v5, 1, v2
	s_nop 0
	v_cndmask_b32_e64 v4, v2, v4, s[2:3]
	v_fma_f32 v2, -v5, v2, v1
	v_cmp_lt_f32_e64 s[2:3], 0, v2
	s_nop 1
	v_cndmask_b32_e64 v2, v4, v5, s[2:3]
	v_mul_f32_e32 v4, 0x37800000, v2
	v_cndmask_b32_e32 v2, v2, v4, vcc
	v_mov_b32_e32 v4, 0x260
	v_cmp_class_f32_e32 vcc, v1, v4
	s_nop 1
	v_cndmask_b32_e32 v1, v2, v1, vcc
	v_div_scale_f32 v2, s[2:3], v1, v1, v3
	v_rcp_f32_e32 v4, v2
	s_nop 0
	v_fma_f32 v5, -v2, v4, 1.0
	v_fmac_f32_e32 v4, v5, v4
	v_div_scale_f32 v5, vcc, v3, v1, v3
	v_mul_f32_e32 v6, v5, v4
	v_fma_f32 v7, -v2, v6, v5
	v_fmac_f32_e32 v6, v7, v4
	v_fma_f32 v2, -v2, v6, v5
	v_div_fmas_f32 v2, v2, v4, v6
	v_div_fixup_f32 v2, v2, v1, v3
                                        ; implicit-def: $vgpr1
                                        ; implicit-def: $vgpr4
                                        ; implicit-def: $vgpr3
.LBB19_727:
	s_andn2_saveexec_b64 s[8:9], s[8:9]
	s_cbranch_execz .LBB19_729
; %bb.728:
	s_mov_b32 s2, 0xf800000
	s_mov_b32 s3, 0x4f800000
	v_mul_f32_e64 v2, |v1|, s3
	v_cmp_lt_f32_e64 vcc, |v1|, s2
	s_nop 1
	v_cndmask_b32_e64 v1, |v1|, v2, vcc
	v_sqrt_f32_e32 v2, v1
	s_nop 0
	v_add_u32_e32 v5, -1, v2
	v_fma_f32 v6, -v5, v2, v1
	v_cmp_ge_f32_e64 s[2:3], 0, v6
	v_add_u32_e32 v6, 1, v2
	s_nop 0
	v_cndmask_b32_e64 v5, v2, v5, s[2:3]
	v_fma_f32 v2, -v6, v2, v1
	v_cmp_lt_f32_e64 s[2:3], 0, v2
	s_nop 1
	v_cndmask_b32_e64 v2, v5, v6, s[2:3]
	v_mul_f32_e32 v5, 0x37800000, v2
	v_cndmask_b32_e32 v2, v2, v5, vcc
	v_mov_b32_e32 v5, 0x260
	v_cmp_class_f32_e32 vcc, v1, v5
	s_nop 1
	v_cndmask_b32_e32 v1, v2, v1, vcc
	v_mul_f32_e32 v2, -0.5, v4
	v_mul_f32_e32 v2, v3, v2
	v_div_scale_f32 v3, s[2:3], v1, v1, v2
	v_rcp_f32_e32 v4, v3
	s_nop 0
	v_fma_f32 v5, -v3, v4, 1.0
	v_fmac_f32_e32 v4, v5, v4
	v_div_scale_f32 v5, vcc, v2, v1, v2
	v_mul_f32_e32 v6, v5, v4
	v_fma_f32 v7, -v3, v6, v5
	v_fmac_f32_e32 v6, v7, v4
	v_fma_f32 v3, -v3, v6, v5
	v_div_fmas_f32 v3, v3, v4, v6
	v_div_fixup_f32 v2, v3, v1, v2
.LBB19_729:
	s_or_b64 exec, exec, s[8:9]
.LBB19_730:
	s_or_b64 exec, exec, s[6:7]
	v_mov_b32_e32 v1, 0
	s_and_b32 s12, s73, 0xff
	s_cmp_lt_i32 s12, 11
	v_lshl_add_u64 v[0:1], s[20:21], 0, v[0:1]
	s_cbranch_scc1 .LBB19_738
; %bb.731:
	s_and_b32 s13, 0xffff, s12
	s_cmp_gt_i32 s13, 25
	s_cbranch_scc0 .LBB19_739
; %bb.732:
	s_cmp_gt_i32 s13, 28
	s_cbranch_scc0 .LBB19_740
; %bb.733:
	;; [unrolled: 3-line block ×4, first 2 shown]
	s_mov_b64 s[8:9], 0
	s_mov_b64 s[2:3], -1
	s_cmp_eq_u32 s13, 46
	s_mov_b64 s[6:7], 0
	s_cbranch_scc0 .LBB19_743
; %bb.736:
	v_bfe_u32 v3, v2, 16, 1
	s_movk_i32 s2, 0x7fff
	v_add3_u32 v3, v2, v3, s2
	v_cmp_o_f32_e32 vcc, v2, v2
	v_mov_b32_e32 v4, 0x7fc0
	s_mov_b64 s[6:7], -1
	v_cndmask_b32_sdwa v3, v4, v3, vcc dst_sel:DWORD dst_unused:UNUSED_PAD src0_sel:DWORD src1_sel:WORD_1
	global_store_dword v[0:1], v3, off
	s_mov_b64 s[2:3], 0
	s_branch .LBB19_743
.LBB19_737:
	s_mov_b64 s[6:7], 0
	s_mov_b64 s[2:3], s[62:63]
	s_branch .LBB19_854
.LBB19_738:
	s_mov_b64 s[8:9], -1
	s_mov_b64 s[6:7], 0
	s_mov_b64 s[2:3], s[62:63]
	s_branch .LBB19_812
.LBB19_739:
	s_mov_b64 s[8:9], -1
	s_mov_b64 s[6:7], 0
	s_mov_b64 s[2:3], s[62:63]
	s_branch .LBB19_770
.LBB19_740:
	s_mov_b64 s[8:9], -1
	s_mov_b64 s[6:7], 0
	s_mov_b64 s[2:3], s[62:63]
	s_branch .LBB19_753
.LBB19_741:
	s_mov_b64 s[8:9], -1
	s_mov_b64 s[6:7], 0
	s_mov_b64 s[2:3], s[62:63]
	s_branch .LBB19_749
.LBB19_742:
	s_mov_b64 s[8:9], -1
	s_mov_b64 s[6:7], 0
	s_mov_b64 s[2:3], s[62:63]
.LBB19_743:
	s_and_b64 vcc, exec, s[8:9]
	s_cbranch_vccz .LBB19_748
; %bb.744:
	s_cmp_eq_u32 s13, 44
	s_mov_b64 s[2:3], -1
	s_cbranch_scc0 .LBB19_748
; %bb.745:
	v_bfe_u32 v3, v2, 23, 8
	s_movk_i32 s2, 0xff
	v_cmp_ne_u32_e32 vcc, s2, v3
	v_mov_b32_e32 v4, 0xff
	s_and_saveexec_b64 s[6:7], vcc
; %bb.746:
	s_mov_b32 s2, 0x3fffff
	v_and_b32_e32 v5, 0x400000, v2
	v_and_or_b32 v3, v2, s2, v3
	v_cmp_ne_u32_e32 vcc, 0, v5
	v_cmp_ne_u32_e64 s[2:3], 0, v3
	s_and_b64 s[2:3], vcc, s[2:3]
	v_lshrrev_b32_e32 v4, 23, v2
	v_cndmask_b32_e64 v3, 0, 1, s[2:3]
	v_add_u32_e32 v4, v4, v3
; %bb.747:
	s_or_b64 exec, exec, s[6:7]
	s_mov_b64 s[6:7], -1
	s_mov_b64 s[2:3], 0
	global_store_byte v[0:1], v4, off
.LBB19_748:
	s_mov_b64 s[8:9], 0
.LBB19_749:
	s_and_b64 vcc, exec, s[8:9]
	s_cbranch_vccz .LBB19_752
; %bb.750:
	s_cmp_eq_u32 s13, 29
	s_mov_b64 s[2:3], -1
	s_cbranch_scc0 .LBB19_752
; %bb.751:
	v_trunc_f32_e32 v3, v2
	v_mul_f32_e32 v4, 0x2f800000, v3
	v_floor_f32_e32 v4, v4
	v_fmamk_f32 v3, v4, 0xcf800000, v3
	v_cvt_u32_f32_e32 v5, v4
	v_cvt_u32_f32_e32 v4, v3
	s_mov_b64 s[6:7], -1
	s_mov_b64 s[2:3], 0
	s_mov_b64 s[8:9], 0
	global_store_dwordx2 v[0:1], v[4:5], off
	s_branch .LBB19_753
.LBB19_752:
	s_mov_b64 s[8:9], 0
.LBB19_753:
	s_and_b64 vcc, exec, s[8:9]
	s_cbranch_vccz .LBB19_769
; %bb.754:
	s_cmp_lt_i32 s13, 27
	s_mov_b64 s[6:7], -1
	s_cbranch_scc1 .LBB19_760
; %bb.755:
	v_cvt_u32_f32_e32 v3, v2
	s_cmp_gt_i32 s13, 27
	s_cbranch_scc0 .LBB19_757
; %bb.756:
	s_mov_b64 s[6:7], 0
	global_store_dword v[0:1], v3, off
.LBB19_757:
	s_andn2_b64 vcc, exec, s[6:7]
	s_cbranch_vccnz .LBB19_759
; %bb.758:
	global_store_short v[0:1], v3, off
.LBB19_759:
	s_mov_b64 s[6:7], 0
.LBB19_760:
	s_andn2_b64 vcc, exec, s[6:7]
	s_cbranch_vccnz .LBB19_768
; %bb.761:
	v_and_b32_e32 v3, 0x7fffffff, v2
	s_mov_b32 s6, 0x43800000
	v_cmp_gt_u32_e32 vcc, s6, v3
	v_mov_b32_e32 v4, 0x80
	s_and_saveexec_b64 s[6:7], vcc
	s_cbranch_execz .LBB19_767
; %bb.762:
	s_mov_b32 s8, 0x3bffffff
	v_cmp_lt_u32_e32 vcc, s8, v3
	s_mov_b64 s[8:9], 0
                                        ; implicit-def: $vgpr3
	s_and_saveexec_b64 s[10:11], vcc
	s_xor_b64 s[10:11], exec, s[10:11]
	s_cbranch_execz .LBB19_885
; %bb.763:
	v_bfe_u32 v3, v2, 20, 1
	s_mov_b32 s14, 0x487ffff
	v_add3_u32 v3, v2, v3, s14
	s_mov_b64 s[8:9], exec
	v_lshrrev_b32_e32 v3, 20, v3
	s_andn2_saveexec_b64 s[10:11], s[10:11]
	s_cbranch_execnz .LBB19_886
.LBB19_764:
	s_or_b64 exec, exec, s[10:11]
	v_mov_b32_e32 v4, 0
	s_and_saveexec_b64 s[10:11], s[8:9]
.LBB19_765:
	v_lshrrev_b32_e32 v4, 24, v2
	s_movk_i32 s8, 0x80
	v_and_or_b32 v4, v4, s8, v3
.LBB19_766:
	s_or_b64 exec, exec, s[10:11]
.LBB19_767:
	s_or_b64 exec, exec, s[6:7]
	global_store_byte v[0:1], v4, off
.LBB19_768:
	s_mov_b64 s[6:7], -1
.LBB19_769:
	s_mov_b64 s[8:9], 0
.LBB19_770:
	s_and_b64 vcc, exec, s[8:9]
	s_cbranch_vccz .LBB19_811
; %bb.771:
	s_cmp_gt_i32 s13, 22
	s_mov_b64 s[8:9], -1
	s_cbranch_scc0 .LBB19_803
; %bb.772:
	s_cmp_lt_i32 s13, 24
	s_mov_b64 s[6:7], -1
	s_cbranch_scc1 .LBB19_792
; %bb.773:
	s_cmp_gt_i32 s13, 24
	s_cbranch_scc0 .LBB19_781
; %bb.774:
	v_and_b32_e32 v3, 0x7fffffff, v2
	s_mov_b32 s6, 0x47800000
	v_cmp_gt_u32_e32 vcc, s6, v3
	v_mov_b32_e32 v4, 0x80
	s_and_saveexec_b64 s[6:7], vcc
	s_cbranch_execz .LBB19_780
; %bb.775:
	s_mov_b32 s8, 0x37ffffff
	v_cmp_lt_u32_e32 vcc, s8, v3
	s_mov_b64 s[8:9], 0
                                        ; implicit-def: $vgpr3
	s_and_saveexec_b64 s[10:11], vcc
	s_xor_b64 s[10:11], exec, s[10:11]
	s_cbranch_execz .LBB19_888
; %bb.776:
	v_bfe_u32 v3, v2, 21, 1
	s_mov_b32 s14, 0x88fffff
	v_add3_u32 v3, v2, v3, s14
	s_mov_b64 s[8:9], exec
	v_lshrrev_b32_e32 v3, 21, v3
	s_andn2_saveexec_b64 s[10:11], s[10:11]
	s_cbranch_execnz .LBB19_889
.LBB19_777:
	s_or_b64 exec, exec, s[10:11]
	v_mov_b32_e32 v4, 0
	s_and_saveexec_b64 s[10:11], s[8:9]
.LBB19_778:
	v_lshrrev_b32_e32 v4, 24, v2
	s_movk_i32 s8, 0x80
	v_and_or_b32 v4, v4, s8, v3
.LBB19_779:
	s_or_b64 exec, exec, s[10:11]
.LBB19_780:
	s_or_b64 exec, exec, s[6:7]
	s_mov_b64 s[6:7], 0
	global_store_byte v[0:1], v4, off
.LBB19_781:
	s_and_b64 vcc, exec, s[6:7]
	s_cbranch_vccz .LBB19_791
; %bb.782:
	v_and_b32_e32 v4, 0x7fffffff, v2
	s_mov_b32 s6, 0x43f00000
	v_cmp_gt_u32_e32 vcc, s6, v4
                                        ; implicit-def: $vgpr3
	s_and_saveexec_b64 s[6:7], vcc
	s_xor_b64 s[6:7], exec, s[6:7]
	s_cbranch_execz .LBB19_788
; %bb.783:
	s_mov_b32 s8, 0x3c7fffff
	v_cmp_lt_u32_e32 vcc, s8, v4
                                        ; implicit-def: $vgpr3
	s_and_saveexec_b64 s[8:9], vcc
	s_xor_b64 s[8:9], exec, s[8:9]
; %bb.784:
	v_bfe_u32 v3, v2, 20, 1
	s_mov_b32 s10, 0x407ffff
	v_add3_u32 v3, v2, v3, s10
	v_lshrrev_b32_e32 v4, 20, v3
	v_and_b32_e32 v3, 0xff00000, v3
	s_mov_b32 s10, 0x7f00000
	v_mov_b32_e32 v5, 0x7e
	v_cmp_ne_u32_e32 vcc, s10, v3
	s_nop 1
	v_cndmask_b32_e32 v3, v5, v4, vcc
; %bb.785:
	s_andn2_saveexec_b64 s[8:9], s[8:9]
; %bb.786:
	s_mov_b32 s10, 0x46800000
	v_add_f32_e64 v3, |v2|, s10
; %bb.787:
	s_or_b64 exec, exec, s[8:9]
                                        ; implicit-def: $vgpr4
.LBB19_788:
	s_andn2_saveexec_b64 s[6:7], s[6:7]
; %bb.789:
	s_mov_b32 s8, 0x7f800000
	v_mov_b32_e32 v3, 0x7e
	v_mov_b32_e32 v5, 0x7f
	v_cmp_lt_u32_e32 vcc, s8, v4
	s_nop 1
	v_cndmask_b32_e32 v3, v3, v5, vcc
; %bb.790:
	s_or_b64 exec, exec, s[6:7]
	v_lshrrev_b32_e32 v4, 24, v2
	s_movk_i32 s6, 0x80
	v_and_or_b32 v3, v4, s6, v3
	global_store_byte v[0:1], v3, off
.LBB19_791:
	s_mov_b64 s[6:7], 0
.LBB19_792:
	s_andn2_b64 vcc, exec, s[6:7]
	s_cbranch_vccnz .LBB19_802
; %bb.793:
	v_and_b32_e32 v4, 0x7fffffff, v2
	s_mov_b32 s6, 0x47800000
	v_cmp_gt_u32_e32 vcc, s6, v4
                                        ; implicit-def: $vgpr3
	s_and_saveexec_b64 s[6:7], vcc
	s_xor_b64 s[6:7], exec, s[6:7]
	s_cbranch_execz .LBB19_799
; %bb.794:
	s_mov_b32 s8, 0x387fffff
	v_cmp_lt_u32_e32 vcc, s8, v4
                                        ; implicit-def: $vgpr3
	s_and_saveexec_b64 s[8:9], vcc
	s_xor_b64 s[8:9], exec, s[8:9]
; %bb.795:
	v_bfe_u32 v3, v2, 21, 1
	s_mov_b32 s10, 0x80fffff
	v_add3_u32 v3, v2, v3, s10
	v_lshrrev_b32_e32 v3, 21, v3
; %bb.796:
	s_andn2_saveexec_b64 s[8:9], s[8:9]
; %bb.797:
	s_mov_b32 s10, 0x43000000
	v_add_f32_e64 v3, |v2|, s10
; %bb.798:
	s_or_b64 exec, exec, s[8:9]
                                        ; implicit-def: $vgpr4
.LBB19_799:
	s_andn2_saveexec_b64 s[6:7], s[6:7]
; %bb.800:
	s_mov_b32 s8, 0x7f800000
	v_mov_b32_e32 v3, 0x7c
	v_mov_b32_e32 v5, 0x7f
	v_cmp_lt_u32_e32 vcc, s8, v4
	s_nop 1
	v_cndmask_b32_e32 v3, v3, v5, vcc
; %bb.801:
	s_or_b64 exec, exec, s[6:7]
	v_lshrrev_b32_e32 v4, 24, v2
	s_movk_i32 s6, 0x80
	v_and_or_b32 v3, v4, s6, v3
	global_store_byte v[0:1], v3, off
.LBB19_802:
	s_mov_b64 s[8:9], 0
	s_mov_b64 s[6:7], -1
.LBB19_803:
	s_andn2_b64 vcc, exec, s[8:9]
	s_cbranch_vccnz .LBB19_811
; %bb.804:
	s_cmp_gt_i32 s13, 14
	s_mov_b64 s[8:9], -1
	s_cbranch_scc0 .LBB19_808
; %bb.805:
	s_cmp_eq_u32 s13, 15
	s_mov_b64 s[2:3], -1
	s_cbranch_scc0 .LBB19_807
; %bb.806:
	v_bfe_u32 v3, v2, 16, 1
	s_movk_i32 s2, 0x7fff
	v_add3_u32 v3, v2, v3, s2
	v_cmp_o_f32_e32 vcc, v2, v2
	v_mov_b32_e32 v4, 0x7fc0
	s_mov_b64 s[6:7], -1
	v_cndmask_b32_sdwa v3, v4, v3, vcc dst_sel:DWORD dst_unused:UNUSED_PAD src0_sel:DWORD src1_sel:WORD_1
	global_store_short v[0:1], v3, off
	s_mov_b64 s[2:3], 0
.LBB19_807:
	s_mov_b64 s[8:9], 0
.LBB19_808:
	s_and_b64 vcc, exec, s[8:9]
	s_cbranch_vccz .LBB19_811
; %bb.809:
	s_cmp_eq_u32 s13, 11
	s_mov_b64 s[2:3], -1
	s_cbranch_scc0 .LBB19_811
; %bb.810:
	v_cmp_neq_f32_e32 vcc, 0, v2
	s_mov_b64 s[6:7], -1
	s_mov_b64 s[2:3], 0
	v_cndmask_b32_e64 v3, 0, 1, vcc
	global_store_byte v[0:1], v3, off
.LBB19_811:
	s_mov_b64 s[8:9], 0
.LBB19_812:
	s_and_b64 vcc, exec, s[8:9]
	s_cbranch_vccz .LBB19_851
; %bb.813:
	s_and_b32 s8, 0xffff, s12
	s_cmp_lt_i32 s8, 5
	s_mov_b64 s[6:7], -1
	s_cbranch_scc1 .LBB19_834
; %bb.814:
	s_cmp_lt_i32 s8, 8
	s_cbranch_scc1 .LBB19_824
; %bb.815:
	s_cmp_lt_i32 s8, 9
	s_cbranch_scc1 .LBB19_821
; %bb.816:
	s_cmp_gt_i32 s8, 9
	s_cbranch_scc0 .LBB19_818
; %bb.817:
	v_mov_b32_e32 v6, 0
	v_cvt_f64_f32_e32 v[4:5], v2
	v_mov_b32_e32 v7, v6
	s_mov_b64 s[6:7], 0
	global_store_dwordx4 v[0:1], v[4:7], off
.LBB19_818:
	s_andn2_b64 vcc, exec, s[6:7]
	s_cbranch_vccnz .LBB19_820
; %bb.819:
	v_mov_b32_e32 v3, 0
	global_store_dwordx2 v[0:1], v[2:3], off
.LBB19_820:
	s_mov_b64 s[6:7], 0
.LBB19_821:
	s_andn2_b64 vcc, exec, s[6:7]
	s_cbranch_vccnz .LBB19_823
; %bb.822:
	v_cvt_f16_f32_e32 v3, v2
	global_store_dword v[0:1], v3, off
.LBB19_823:
	s_mov_b64 s[6:7], 0
.LBB19_824:
	s_andn2_b64 vcc, exec, s[6:7]
	s_cbranch_vccnz .LBB19_833
; %bb.825:
	s_cmp_lt_i32 s8, 6
	s_mov_b64 s[6:7], -1
	s_cbranch_scc1 .LBB19_831
; %bb.826:
	s_cmp_gt_i32 s8, 6
	s_cbranch_scc0 .LBB19_828
; %bb.827:
	v_cvt_f64_f32_e32 v[4:5], v2
	s_mov_b64 s[6:7], 0
	global_store_dwordx2 v[0:1], v[4:5], off
.LBB19_828:
	s_andn2_b64 vcc, exec, s[6:7]
	s_cbranch_vccnz .LBB19_830
; %bb.829:
	global_store_dword v[0:1], v2, off
.LBB19_830:
	s_mov_b64 s[6:7], 0
.LBB19_831:
	s_andn2_b64 vcc, exec, s[6:7]
	s_cbranch_vccnz .LBB19_833
; %bb.832:
	v_cvt_f16_f32_e32 v3, v2
	global_store_short v[0:1], v3, off
.LBB19_833:
	s_mov_b64 s[6:7], 0
.LBB19_834:
	s_andn2_b64 vcc, exec, s[6:7]
	s_cbranch_vccnz .LBB19_850
; %bb.835:
	s_cmp_lt_i32 s8, 2
	s_mov_b64 s[6:7], -1
	s_cbranch_scc1 .LBB19_845
; %bb.836:
	s_cmp_lt_i32 s8, 3
	s_cbranch_scc1 .LBB19_842
; %bb.837:
	s_cmp_gt_i32 s8, 3
	s_cbranch_scc0 .LBB19_839
; %bb.838:
	v_trunc_f32_e32 v3, v2
	s_mov_b32 s6, 0x2f800000
	v_mul_f32_e64 v4, |v3|, s6
	v_floor_f32_e32 v4, v4
	s_mov_b32 s6, 0xcf800000
	v_cvt_u32_f32_e32 v5, v4
	v_fma_f32 v4, v4, s6, |v3|
	v_cvt_u32_f32_e32 v4, v4
	v_ashrrev_i32_e32 v3, 31, v3
	v_xor_b32_e32 v5, v5, v3
	s_mov_b64 s[6:7], 0
	v_xor_b32_e32 v4, v4, v3
	v_sub_co_u32_e32 v4, vcc, v4, v3
	s_nop 1
	v_subb_co_u32_e32 v5, vcc, v5, v3, vcc
	global_store_dwordx2 v[0:1], v[4:5], off
.LBB19_839:
	s_andn2_b64 vcc, exec, s[6:7]
	s_cbranch_vccnz .LBB19_841
; %bb.840:
	v_cvt_i32_f32_e32 v3, v2
	global_store_dword v[0:1], v3, off
.LBB19_841:
	s_mov_b64 s[6:7], 0
.LBB19_842:
	s_andn2_b64 vcc, exec, s[6:7]
	s_cbranch_vccnz .LBB19_844
; %bb.843:
	v_cvt_i32_f32_e32 v3, v2
	global_store_short v[0:1], v3, off
.LBB19_844:
	s_mov_b64 s[6:7], 0
.LBB19_845:
	s_andn2_b64 vcc, exec, s[6:7]
	s_cbranch_vccnz .LBB19_850
; %bb.846:
	s_cmp_gt_i32 s8, 0
	s_mov_b64 s[6:7], -1
	s_cbranch_scc0 .LBB19_848
; %bb.847:
	v_cvt_i32_f32_e32 v3, v2
	s_mov_b64 s[6:7], 0
	global_store_byte v[0:1], v3, off
.LBB19_848:
	s_andn2_b64 vcc, exec, s[6:7]
	s_cbranch_vccnz .LBB19_850
; %bb.849:
	v_trunc_f32_e32 v2, v2
	s_mov_b32 s6, 0x2f800000
	v_mul_f32_e64 v3, |v2|, s6
	v_floor_f32_e32 v3, v3
	s_mov_b32 s6, 0xcf800000
	v_fma_f32 v3, v3, s6, |v2|
	v_cvt_u32_f32_e32 v3, v3
	v_ashrrev_i32_e32 v2, 31, v2
	v_xor_b32_e32 v3, v3, v2
	v_sub_u32_e32 v2, v3, v2
	global_store_byte v[0:1], v2, off
.LBB19_850:
	s_mov_b64 s[6:7], -1
.LBB19_851:
	s_andn2_b64 vcc, exec, s[6:7]
	s_cbranch_vccnz .LBB19_853
; %bb.852:
	v_add_u32_e32 v12, 0x80, v12
	s_mov_b64 s[6:7], -1
	s_branch .LBB19_855
.LBB19_853:
	s_mov_b64 s[6:7], 0
.LBB19_854:
                                        ; implicit-def: $vgpr12
.LBB19_855:
	s_andn2_b64 s[8:9], s[62:63], exec
	s_and_b64 s[2:3], s[2:3], exec
	s_or_b64 s[68:69], s[8:9], s[2:3]
	s_andn2_b64 s[2:3], s[60:61], exec
	s_and_b64 s[4:5], s[4:5], exec
	s_or_b64 s[2:3], s[2:3], s[4:5]
	s_orn2_b64 s[6:7], s[6:7], exec
.LBB19_856:
	s_or_b64 exec, exec, s[66:67]
	s_mov_b64 s[4:5], 0
	s_mov_b64 s[10:11], 0
	;; [unrolled: 1-line block ×3, first 2 shown]
                                        ; implicit-def: $vgpr2_vgpr3
                                        ; implicit-def: $vgpr0
                                        ; implicit-def: $vgpr1
	s_and_saveexec_b64 s[66:67], s[6:7]
	s_cbranch_execz .LBB19_956
; %bb.857:
	v_cmp_gt_i32_e32 vcc, s70, v12
	s_mov_b64 s[6:7], 0
	s_mov_b64 s[12:13], s[2:3]
                                        ; implicit-def: $vgpr2_vgpr3
                                        ; implicit-def: $vgpr0
                                        ; implicit-def: $vgpr1
	s_and_saveexec_b64 s[70:71], vcc
	s_cbranch_execz .LBB19_955
; %bb.858:
	s_andn2_b64 vcc, exec, s[42:43]
	s_cbranch_vccnz .LBB19_864
; %bb.859:
	s_andn2_b64 vcc, exec, s[52:53]
	s_cbranch_vccnz .LBB19_865
; %bb.860:
	s_add_i32 s76, s75, 1
	s_cmp_eq_u32 s72, 2
	s_cbranch_scc1 .LBB19_866
; %bb.861:
	s_and_b32 s75, s76, 28
	s_mov_b32 s77, 0
	v_mov_b32_e32 v0, 0
	v_mov_b32_e32 v2, 0
	s_mov_b64 s[52:53], s[34:35]
	v_mov_b32_e32 v4, v12
.LBB19_862:                             ; =>This Inner Loop Header: Depth=1
	s_load_dwordx8 s[12:19], s[52:53], 0x4
	s_load_dwordx4 s[36:39], s[52:53], 0x24
	s_load_dwordx8 s[4:11], s[50:51], 0x0
	s_add_u32 s52, s52, 48
	s_addc_u32 s53, s53, 0
	s_waitcnt vmcnt(0) lgkmcnt(0)
	v_mul_hi_u32 v1, s13, v4
	v_add_u32_e32 v1, v4, v1
	v_lshrrev_b32_e32 v1, s14, v1
	v_mul_lo_u32 v3, v1, s12
	v_mul_hi_u32 v5, s16, v1
	v_sub_u32_e32 v3, v4, v3
	v_add_u32_e32 v4, v1, v5
	v_lshrrev_b32_e32 v4, s17, v4
	v_mul_lo_u32 v6, v4, s15
	v_mul_hi_u32 v7, s19, v4
	v_sub_u32_e32 v1, v1, v6
	v_add_u32_e32 v6, v4, v7
	v_mul_lo_u32 v5, v3, s5
	v_mul_lo_u32 v3, v3, s4
	;; [unrolled: 1-line block ×4, first 2 shown]
	v_lshrrev_b32_e32 v6, s36, v6
	v_add3_u32 v0, v3, v0, v1
	v_mul_hi_u32 v3, s38, v6
	v_add3_u32 v1, v5, v2, v7
	v_mul_lo_u32 v2, v6, s18
	v_add_u32_e32 v3, v6, v3
	v_sub_u32_e32 v2, v4, v2
	v_lshrrev_b32_e32 v4, s39, v3
	s_add_i32 s77, s77, 4
	v_mul_lo_u32 v3, v4, s37
	s_add_u32 s50, s50, 32
	v_sub_u32_e32 v3, v6, v3
	s_addc_u32 s51, s51, 0
	v_mul_lo_u32 v5, v2, s8
	v_mul_lo_u32 v2, v2, s9
	;; [unrolled: 1-line block ×4, first 2 shown]
	s_cmp_eq_u32 s75, s77
	v_add3_u32 v2, v2, v1, v3
	v_add3_u32 v0, v5, v0, v6
	s_cbranch_scc0 .LBB19_862
; %bb.863:
	v_mov_b32_e32 v1, v2
	s_branch .LBB19_867
.LBB19_864:
	s_mov_b64 s[4:5], -1
                                        ; implicit-def: $vgpr2
                                        ; implicit-def: $vgpr0
	s_branch .LBB19_871
.LBB19_865:
	v_mov_b32_e32 v2, 0
	v_mov_b32_e32 v0, 0
	s_branch .LBB19_870
.LBB19_866:
	v_mov_b32_e32 v0, 0
	s_mov_b32 s75, 0
	s_waitcnt vmcnt(0)
	v_mov_b32_e32 v1, v0
                                        ; implicit-def: $vgpr2
	v_mov_b32_e32 v4, v12
.LBB19_867:
	s_and_b32 s8, s76, 3
	s_cmp_eq_u32 s8, 0
	s_cbranch_scc1 .LBB19_870
; %bb.868:
	s_lshl_b32 s4, s75, 3
	s_add_u32 s4, s34, s4
	s_addc_u32 s5, s35, 0
	s_add_u32 s4, s4, 0xc4
	s_addc_u32 s5, s5, 0
	s_mul_i32 s6, s75, 12
	s_add_u32 s6, s34, s6
	s_addc_u32 s7, s35, 0
.LBB19_869:                             ; =>This Inner Loop Header: Depth=1
	s_load_dwordx2 s[10:11], s[6:7], 0x4
	s_load_dword s9, s[6:7], 0xc
	s_load_dwordx2 s[12:13], s[4:5], 0x0
	v_mov_b32_e32 v2, v1
	s_add_u32 s6, s6, 12
	s_waitcnt lgkmcnt(0)
	v_mul_hi_u32 v1, s11, v4
	v_add_u32_e32 v1, v4, v1
	v_lshrrev_b32_e32 v1, s9, v1
	s_addc_u32 s7, s7, 0
	v_mul_lo_u32 v3, v1, s10
	s_add_u32 s4, s4, 8
	v_sub_u32_e32 v5, v4, v3
	s_addc_u32 s5, s5, 0
	s_add_i32 s8, s8, -1
	v_mov_b32_e32 v4, v1
	v_mad_u64_u32 v[2:3], s[10:11], v5, s13, v[2:3]
	v_mad_u64_u32 v[0:1], s[10:11], v5, s12, v[0:1]
	s_cmp_lg_u32 s8, 0
	v_mov_b32_e32 v1, v2
	s_cbranch_scc1 .LBB19_869
.LBB19_870:
	s_mov_b64 s[4:5], 0
.LBB19_871:
	s_andn2_b64 vcc, exec, s[4:5]
	s_cbranch_vccnz .LBB19_874
; %bb.872:
	s_waitcnt lgkmcnt(0)
	v_mul_hi_u32 v0, s29, v12
	v_add_u32_e32 v0, v12, v0
	s_waitcnt vmcnt(0)
	v_lshrrev_b32_e32 v1, s30, v0
	v_mul_lo_u32 v0, v1, s28
	v_sub_u32_e32 v0, v12, v0
	v_mul_lo_u32 v2, v0, s25
	s_andn2_b64 vcc, exec, s[48:49]
	v_mul_lo_u32 v0, v0, s24
	s_cbranch_vccnz .LBB19_874
; %bb.873:
	v_mul_hi_u32 v3, s46, v1
	v_add_u32_e32 v3, v1, v3
	v_lshrrev_b32_e32 v3, s47, v3
	v_mul_lo_u32 v3, v3, s31
	v_sub_u32_e32 v3, v1, v3
	v_mad_u64_u32 v[0:1], s[4:5], v3, s26, v[0:1]
	v_mad_u64_u32 v[2:3], s[4:5], v3, s27, v[2:3]
.LBB19_874:
	v_mov_b32_e32 v3, 0
	s_and_b32 s14, 0xffff, s74
	s_cmp_lt_i32 s14, 11
	s_waitcnt lgkmcnt(0)
	v_lshl_add_u64 v[2:3], s[22:23], 0, v[2:3]
	s_cbranch_scc1 .LBB19_881
; %bb.875:
	s_cmp_gt_i32 s14, 25
	s_mov_b64 s[6:7], 0
	s_cbranch_scc0 .LBB19_882
; %bb.876:
	s_cmp_gt_i32 s14, 28
	s_cbranch_scc0 .LBB19_883
; %bb.877:
	s_cmp_gt_i32 s14, 43
	;; [unrolled: 3-line block ×3, first 2 shown]
	s_cbranch_scc0 .LBB19_887
; %bb.879:
	s_cmp_eq_u32 s14, 46
	s_mov_b64 s[10:11], 0
	s_cbranch_scc0 .LBB19_890
; %bb.880:
	global_load_dword v1, v[2:3], off
	s_mov_b64 s[4:5], 0
	s_mov_b64 s[8:9], -1
	s_waitcnt vmcnt(0)
	v_lshlrev_b32_e32 v1, 16, v1
	s_branch .LBB19_891
.LBB19_881:
	s_mov_b64 s[10:11], -1
	s_mov_b64 s[8:9], 0
	s_mov_b64 s[6:7], 0
	;; [unrolled: 1-line block ×3, first 2 shown]
                                        ; implicit-def: $vgpr1
	s_branch .LBB19_954
.LBB19_882:
	s_mov_b64 s[10:11], -1
	s_mov_b64 s[8:9], 0
	s_mov_b64 s[4:5], s[2:3]
                                        ; implicit-def: $vgpr1
	s_branch .LBB19_920
.LBB19_883:
	s_mov_b64 s[10:11], -1
	s_mov_b64 s[8:9], 0
	s_mov_b64 s[4:5], s[2:3]
                                        ; implicit-def: $vgpr1
	s_branch .LBB19_901
.LBB19_884:
	s_mov_b64 s[10:11], -1
	s_mov_b64 s[8:9], 0
	s_mov_b64 s[4:5], s[2:3]
                                        ; implicit-def: $vgpr1
	s_branch .LBB19_896
.LBB19_885:
	s_andn2_saveexec_b64 s[10:11], s[10:11]
	s_cbranch_execz .LBB19_764
.LBB19_886:
	s_mov_b32 s14, 0x46000000
	v_add_f32_e64 v3, |v2|, s14
	v_and_b32_e32 v3, 0xff, v3
	v_cmp_ne_u32_e32 vcc, 0, v3
	s_andn2_b64 s[8:9], s[8:9], exec
	s_and_b64 s[14:15], vcc, exec
	s_or_b64 s[8:9], s[8:9], s[14:15]
	s_or_b64 exec, exec, s[10:11]
	v_mov_b32_e32 v4, 0
	s_and_saveexec_b64 s[10:11], s[8:9]
	s_cbranch_execnz .LBB19_765
	s_branch .LBB19_766
.LBB19_887:
	s_mov_b64 s[10:11], -1
	s_mov_b64 s[8:9], 0
	s_mov_b64 s[4:5], s[2:3]
                                        ; implicit-def: $vgpr1
	s_branch .LBB19_891
.LBB19_888:
	s_andn2_saveexec_b64 s[10:11], s[10:11]
	s_cbranch_execz .LBB19_777
.LBB19_889:
	s_mov_b32 s14, 0x42800000
	v_add_f32_e64 v3, |v2|, s14
	v_and_b32_e32 v3, 0xff, v3
	v_cmp_ne_u32_e32 vcc, 0, v3
	s_andn2_b64 s[8:9], s[8:9], exec
	s_and_b64 s[14:15], vcc, exec
	s_or_b64 s[8:9], s[8:9], s[14:15]
	s_or_b64 exec, exec, s[10:11]
	v_mov_b32_e32 v4, 0
	s_and_saveexec_b64 s[10:11], s[8:9]
	s_cbranch_execnz .LBB19_778
	s_branch .LBB19_779
.LBB19_890:
	s_mov_b64 s[4:5], -1
                                        ; implicit-def: $vgpr1
	s_mov_b64 s[8:9], 0
.LBB19_891:
	s_and_b64 vcc, exec, s[10:11]
	s_cbranch_vccz .LBB19_895
; %bb.892:
	s_cmp_eq_u32 s14, 44
	s_cbranch_scc0 .LBB19_894
; %bb.893:
	global_load_ubyte v1, v[2:3], off
	s_movk_i32 s8, 0xff
	v_mov_b32_e32 v4, 0x7f800001
	v_mov_b32_e32 v5, 0x400000
	s_mov_b64 s[4:5], 0
	s_waitcnt vmcnt(0)
	v_lshlrev_b32_e32 v6, 23, v1
	v_cmp_ne_u32_e32 vcc, s8, v1
	s_mov_b64 s[8:9], -1
	s_nop 0
	v_cndmask_b32_e32 v4, v4, v6, vcc
	v_cmp_ne_u32_e32 vcc, 0, v1
	s_nop 1
	v_cndmask_b32_e32 v1, v5, v4, vcc
	s_branch .LBB19_895
.LBB19_894:
	s_mov_b64 s[4:5], -1
                                        ; implicit-def: $vgpr1
.LBB19_895:
	s_mov_b64 s[10:11], 0
.LBB19_896:
	s_and_b64 vcc, exec, s[10:11]
	s_cbranch_vccz .LBB19_900
; %bb.897:
	s_cmp_eq_u32 s14, 29
	s_cbranch_scc0 .LBB19_899
; %bb.898:
	global_load_dwordx2 v[4:5], v[2:3], off
	s_mov_b64 s[4:5], 0
	s_mov_b64 s[8:9], -1
	s_mov_b64 s[10:11], 0
	s_waitcnt vmcnt(0)
	v_ffbh_u32_e32 v1, v5
	v_min_u32_e32 v1, 32, v1
	v_lshlrev_b64 v[4:5], v1, v[4:5]
	v_min_u32_e32 v4, 1, v4
	v_or_b32_e32 v4, v5, v4
	v_cvt_f32_u32_e32 v4, v4
	v_sub_u32_e32 v1, 32, v1
	v_ldexp_f32 v1, v4, v1
	s_branch .LBB19_901
.LBB19_899:
	s_mov_b64 s[4:5], -1
                                        ; implicit-def: $vgpr1
.LBB19_900:
	s_mov_b64 s[10:11], 0
.LBB19_901:
	s_and_b64 vcc, exec, s[10:11]
	s_cbranch_vccz .LBB19_919
; %bb.902:
	s_cmp_lt_i32 s14, 27
	s_cbranch_scc1 .LBB19_905
; %bb.903:
	s_cmp_gt_i32 s14, 27
	s_cbranch_scc0 .LBB19_906
; %bb.904:
	global_load_dword v1, v[2:3], off
	s_mov_b64 s[8:9], 0
	s_waitcnt vmcnt(0)
	v_cvt_f32_u32_e32 v1, v1
	s_branch .LBB19_907
.LBB19_905:
	s_mov_b64 s[8:9], -1
                                        ; implicit-def: $vgpr1
	s_branch .LBB19_910
.LBB19_906:
	s_mov_b64 s[8:9], -1
                                        ; implicit-def: $vgpr1
.LBB19_907:
	s_andn2_b64 vcc, exec, s[8:9]
	s_cbranch_vccnz .LBB19_909
; %bb.908:
	global_load_ushort v1, v[2:3], off
	s_waitcnt vmcnt(0)
	v_cvt_f32_u32_e32 v1, v1
.LBB19_909:
	s_mov_b64 s[8:9], 0
.LBB19_910:
	s_andn2_b64 vcc, exec, s[8:9]
	s_cbranch_vccnz .LBB19_918
; %bb.911:
	global_load_ubyte v4, v[2:3], off
	s_movk_i32 s8, 0x7f
	s_waitcnt vmcnt(0)
	v_cmp_lt_i16_e32 vcc, s8, v4
	s_mov_b64 s[8:9], 0
	s_and_saveexec_b64 s[10:11], vcc
	s_xor_b64 s[10:11], exec, s[10:11]
	s_cbranch_execz .LBB19_932
; %bb.912:
	s_movk_i32 s8, 0x80
	v_cmp_eq_u16_e32 vcc, s8, v4
	s_mov_b64 s[8:9], -1
	s_and_saveexec_b64 s[12:13], vcc
; %bb.913:
	s_xor_b64 s[8:9], exec, -1
; %bb.914:
	s_or_b64 exec, exec, s[12:13]
	s_and_b64 s[8:9], s[8:9], exec
	s_or_saveexec_b64 s[10:11], s[10:11]
	v_mov_b32_e32 v1, 0x7f800001
	s_xor_b64 exec, exec, s[10:11]
	s_cbranch_execnz .LBB19_933
.LBB19_915:
	s_or_b64 exec, exec, s[10:11]
	s_and_saveexec_b64 s[10:11], s[8:9]
	s_cbranch_execz .LBB19_917
.LBB19_916:
	v_lshlrev_b32_e32 v1, 24, v4
	v_and_b32_e32 v4, 0xffff, v4
	v_and_b32_e32 v5, 7, v4
	v_ffbh_u32_e32 v7, v5
	v_min_u32_e32 v7, 32, v7
	v_subrev_u32_e32 v8, 28, v7
	v_bfe_u32 v6, v4, 3, 4
	v_lshlrev_b32_e32 v4, v8, v4
	v_sub_u32_e32 v7, 29, v7
	v_and_b32_e32 v4, 7, v4
	v_cmp_eq_u32_e32 vcc, 0, v6
	v_and_b32_e32 v1, 0x80000000, v1
	s_nop 0
	v_cndmask_b32_e32 v6, v6, v7, vcc
	v_cndmask_b32_e32 v4, v5, v4, vcc
	v_mov_b32_e32 v5, 0x3b800000
	v_lshlrev_b32_e32 v4, 20, v4
	v_lshl_add_u32 v5, v6, 23, v5
	v_or3_b32 v1, v1, v5, v4
.LBB19_917:
	s_or_b64 exec, exec, s[10:11]
.LBB19_918:
	s_mov_b64 s[8:9], -1
.LBB19_919:
	s_mov_b64 s[10:11], 0
.LBB19_920:
	s_and_b64 vcc, exec, s[10:11]
	s_cbranch_vccz .LBB19_953
; %bb.921:
	s_cmp_gt_i32 s14, 22
	s_cbranch_scc0 .LBB19_931
; %bb.922:
	s_cmp_lt_i32 s14, 24
	s_cbranch_scc1 .LBB19_934
; %bb.923:
	s_cmp_gt_i32 s14, 24
	s_cbranch_scc0 .LBB19_935
; %bb.924:
	global_load_ubyte v4, v[2:3], off
	s_movk_i32 s6, 0x7f
	s_waitcnt vmcnt(0)
	v_cmp_lt_i16_e32 vcc, s6, v4
	s_mov_b64 s[6:7], 0
	s_and_saveexec_b64 s[8:9], vcc
	s_xor_b64 s[8:9], exec, s[8:9]
	s_cbranch_execz .LBB19_947
; %bb.925:
	s_movk_i32 s6, 0x80
	v_cmp_eq_u16_e32 vcc, s6, v4
	s_mov_b64 s[6:7], -1
	s_and_saveexec_b64 s[10:11], vcc
; %bb.926:
	s_xor_b64 s[6:7], exec, -1
; %bb.927:
	s_or_b64 exec, exec, s[10:11]
	s_and_b64 s[6:7], s[6:7], exec
	s_or_saveexec_b64 s[8:9], s[8:9]
	v_mov_b32_e32 v1, 0x7f800001
	s_xor_b64 exec, exec, s[8:9]
	s_cbranch_execnz .LBB19_948
.LBB19_928:
	s_or_b64 exec, exec, s[8:9]
	s_and_saveexec_b64 s[8:9], s[6:7]
	s_cbranch_execz .LBB19_930
.LBB19_929:
	v_lshlrev_b32_e32 v1, 24, v4
	v_and_b32_e32 v4, 0xffff, v4
	v_and_b32_e32 v5, 3, v4
	v_ffbh_u32_e32 v7, v5
	v_min_u32_e32 v7, 32, v7
	v_subrev_u32_e32 v8, 29, v7
	v_bfe_u32 v6, v4, 2, 5
	v_lshlrev_b32_e32 v4, v8, v4
	v_sub_u32_e32 v7, 30, v7
	v_and_b32_e32 v4, 3, v4
	v_cmp_eq_u32_e32 vcc, 0, v6
	v_and_b32_e32 v1, 0x80000000, v1
	s_nop 0
	v_cndmask_b32_e32 v6, v6, v7, vcc
	v_cndmask_b32_e32 v4, v5, v4, vcc
	v_mov_b32_e32 v5, 0x37800000
	v_lshlrev_b32_e32 v4, 21, v4
	v_lshl_add_u32 v5, v6, 23, v5
	v_or3_b32 v1, v1, v5, v4
.LBB19_930:
	s_or_b64 exec, exec, s[8:9]
	s_mov_b64 s[6:7], 0
	s_branch .LBB19_936
.LBB19_931:
	s_mov_b64 s[6:7], -1
                                        ; implicit-def: $vgpr1
	s_branch .LBB19_942
.LBB19_932:
	s_or_saveexec_b64 s[10:11], s[10:11]
	v_mov_b32_e32 v1, 0x7f800001
	s_xor_b64 exec, exec, s[10:11]
	s_cbranch_execz .LBB19_915
.LBB19_933:
	v_cmp_ne_u16_e32 vcc, 0, v4
	s_andn2_b64 s[8:9], s[8:9], exec
	s_and_b64 s[12:13], vcc, exec
	v_mov_b32_e32 v1, 0
	s_or_b64 s[8:9], s[8:9], s[12:13]
	s_or_b64 exec, exec, s[10:11]
	s_and_saveexec_b64 s[10:11], s[8:9]
	s_cbranch_execnz .LBB19_916
	s_branch .LBB19_917
.LBB19_934:
	s_mov_b64 s[6:7], -1
                                        ; implicit-def: $vgpr1
	s_branch .LBB19_939
.LBB19_935:
	s_mov_b64 s[6:7], -1
                                        ; implicit-def: $vgpr1
.LBB19_936:
	s_and_b64 vcc, exec, s[6:7]
	s_cbranch_vccz .LBB19_938
; %bb.937:
	global_load_ubyte v1, v[2:3], off
	s_mov_b32 s6, 0x7f800000
	s_waitcnt vmcnt(0)
	v_lshlrev_b32_e32 v1, 24, v1
	v_and_b32_e32 v4, 0x7f000000, v1
	v_ffbh_u32_e32 v5, v4
	v_min_u32_e32 v5, 32, v5
	v_sub_u32_e64 v5, v5, 4 clamp
	v_lshlrev_b32_e32 v7, v5, v4
	v_lshlrev_b32_e32 v5, 23, v5
	v_lshrrev_b32_e32 v7, 4, v7
	v_add_u32_e32 v6, 0x1000000, v4
	v_sub_u32_e32 v5, v7, v5
	v_ashrrev_i32_e32 v6, 8, v6
	v_add_u32_e32 v5, 0x3c000000, v5
	v_and_or_b32 v5, v6, s6, v5
	v_cmp_ne_u32_e32 vcc, 0, v4
	s_brev_b32 s6, 1
	s_nop 0
	v_cndmask_b32_e32 v4, 0, v5, vcc
	v_and_or_b32 v1, v1, s6, v4
.LBB19_938:
	s_mov_b64 s[6:7], 0
.LBB19_939:
	s_andn2_b64 vcc, exec, s[6:7]
	s_cbranch_vccnz .LBB19_941
; %bb.940:
	global_load_ubyte v1, v[2:3], off
	s_movk_i32 s6, 0x7f00
	s_brev_b32 s7, 16
	s_waitcnt vmcnt(0)
	v_lshlrev_b16_e32 v4, 8, v1
	v_lshlrev_b32_e32 v1, 25, v1
	v_lshrrev_b32_e32 v5, 4, v1
	v_and_or_b32 v6, v4, s6, 0.5
	v_or_b32_e32 v5, 0x70000000, v5
	v_add_f32_e32 v6, -0.5, v6
	v_mul_f32_e32 v5, 0x7800000, v5
	v_cmp_gt_u32_e32 vcc, s7, v1
	v_bfe_i32 v4, v4, 0, 16
	s_brev_b32 s6, 1
	v_cndmask_b32_e32 v1, v5, v6, vcc
	v_and_or_b32 v1, v4, s6, v1
.LBB19_941:
	s_mov_b64 s[6:7], 0
	s_mov_b64 s[8:9], -1
.LBB19_942:
	s_andn2_b64 vcc, exec, s[6:7]
	s_mov_b64 s[6:7], 0
	s_cbranch_vccnz .LBB19_953
; %bb.943:
	s_cmp_gt_i32 s14, 14
	s_cbranch_scc0 .LBB19_946
; %bb.944:
	s_cmp_eq_u32 s14, 15
	s_cbranch_scc0 .LBB19_949
; %bb.945:
	global_load_ushort v1, v[2:3], off
	s_mov_b64 s[4:5], 0
	s_mov_b64 s[8:9], -1
	s_waitcnt vmcnt(0)
	v_lshlrev_b32_e32 v1, 16, v1
	s_branch .LBB19_950
.LBB19_946:
	s_mov_b64 s[10:11], -1
                                        ; implicit-def: $vgpr1
	s_branch .LBB19_951
.LBB19_947:
	s_or_saveexec_b64 s[8:9], s[8:9]
	v_mov_b32_e32 v1, 0x7f800001
	s_xor_b64 exec, exec, s[8:9]
	s_cbranch_execz .LBB19_928
.LBB19_948:
	v_cmp_ne_u16_e32 vcc, 0, v4
	s_andn2_b64 s[6:7], s[6:7], exec
	s_and_b64 s[10:11], vcc, exec
	v_mov_b32_e32 v1, 0
	s_or_b64 s[6:7], s[6:7], s[10:11]
	s_or_b64 exec, exec, s[8:9]
	s_and_saveexec_b64 s[8:9], s[6:7]
	s_cbranch_execnz .LBB19_929
	s_branch .LBB19_930
.LBB19_949:
	s_mov_b64 s[4:5], -1
                                        ; implicit-def: $vgpr1
.LBB19_950:
	s_mov_b64 s[10:11], 0
.LBB19_951:
	s_and_b64 vcc, exec, s[10:11]
	s_cbranch_vccz .LBB19_953
; %bb.952:
	s_cmp_lg_u32 s14, 11
	s_cselect_b64 s[10:11], -1, 0
	s_andn2_b64 s[4:5], s[4:5], exec
	s_and_b64 s[10:11], s[10:11], exec
	s_mov_b64 s[6:7], -1
	s_or_b64 s[4:5], s[4:5], s[10:11]
.LBB19_953:
	s_mov_b64 s[10:11], 0
.LBB19_954:
	s_andn2_b64 s[12:13], s[2:3], exec
	s_and_b64 s[4:5], s[4:5], exec
	s_and_b64 s[8:9], s[8:9], exec
	;; [unrolled: 1-line block ×4, first 2 shown]
	s_or_b64 s[12:13], s[12:13], s[4:5]
.LBB19_955:
	s_or_b64 exec, exec, s[70:71]
	s_and_b64 s[4:5], s[6:7], exec
	s_andn2_b64 s[2:3], s[2:3], exec
	s_and_b64 s[6:7], s[12:13], exec
	s_and_b64 s[8:9], s[8:9], exec
	;; [unrolled: 1-line block ×3, first 2 shown]
	s_or_b64 s[2:3], s[2:3], s[6:7]
.LBB19_956:
	s_or_b64 exec, exec, s[66:67]
	s_andn2_b64 s[6:7], s[62:63], exec
	s_and_b64 s[12:13], s[68:69], exec
	s_or_b64 s[62:63], s[6:7], s[12:13]
	s_and_b64 s[6:7], s[10:11], exec
	s_andn2_b64 s[10:11], s[60:61], exec
	s_and_b64 s[2:3], s[2:3], exec
	s_and_b64 s[8:9], s[8:9], exec
	s_and_b64 s[4:5], s[4:5], exec
	s_or_b64 s[60:61], s[10:11], s[2:3]
.LBB19_957:
	s_or_b64 exec, exec, s[64:65]
	s_andn2_b64 s[2:3], s[54:55], exec
	s_and_b64 s[10:11], s[62:63], exec
	s_or_b64 s[54:55], s[2:3], s[10:11]
	s_and_b64 s[2:3], s[8:9], exec
	s_and_b64 s[8:9], s[6:7], exec
	;; [unrolled: 1-line block ×3, first 2 shown]
	s_andn2_b64 s[4:5], s[56:57], exec
	s_and_b64 s[6:7], s[60:61], exec
	s_or_b64 s[56:57], s[4:5], s[6:7]
	s_or_b64 exec, exec, s[58:59]
	s_mov_b64 s[4:5], 0
	s_and_saveexec_b64 s[6:7], s[56:57]
	s_cbranch_execz .LBB19_288
.LBB19_958:
	s_mov_b64 s[4:5], exec
	s_andn2_b64 s[62:63], s[62:63], exec
	s_trap 2
	s_or_b64 exec, exec, s[6:7]
	s_and_saveexec_b64 s[6:7], s[62:63]
	s_xor_b64 s[6:7], exec, s[6:7]
	s_cbranch_execnz .LBB19_289
.LBB19_959:
	s_or_b64 exec, exec, s[6:7]
	s_and_saveexec_b64 s[6:7], s[8:9]
	s_cbranch_execz .LBB19_1005
.LBB19_960:
	s_sext_i32_i16 s8, s74
	s_cmp_lt_i32 s8, 5
	s_cbranch_scc1 .LBB19_965
; %bb.961:
	s_cmp_lt_i32 s8, 8
	s_cbranch_scc1 .LBB19_966
; %bb.962:
	s_cmp_lt_i32 s8, 9
	s_cbranch_scc1 .LBB19_967
; %bb.963:
	s_cmp_gt_i32 s8, 9
	s_cbranch_scc0 .LBB19_968
; %bb.964:
	global_load_dwordx2 v[4:5], v[2:3], off
	s_mov_b64 s[8:9], 0
	s_waitcnt vmcnt(0)
	v_cvt_f32_f64_e32 v1, v[4:5]
	s_branch .LBB19_969
.LBB19_965:
                                        ; implicit-def: $vgpr1
	s_branch .LBB19_986
.LBB19_966:
                                        ; implicit-def: $vgpr1
	s_branch .LBB19_975
.LBB19_967:
	s_mov_b64 s[8:9], -1
                                        ; implicit-def: $vgpr1
	s_branch .LBB19_972
.LBB19_968:
	s_mov_b64 s[8:9], -1
                                        ; implicit-def: $vgpr1
.LBB19_969:
	s_andn2_b64 vcc, exec, s[8:9]
	s_cbranch_vccnz .LBB19_971
; %bb.970:
	global_load_dword v1, v[2:3], off
.LBB19_971:
	s_mov_b64 s[8:9], 0
.LBB19_972:
	s_andn2_b64 vcc, exec, s[8:9]
	s_cbranch_vccnz .LBB19_974
; %bb.973:
	global_load_dword v1, v[2:3], off
	s_waitcnt vmcnt(0)
	v_cvt_f32_f16_e32 v1, v1
.LBB19_974:
	s_cbranch_execnz .LBB19_985
.LBB19_975:
	s_sext_i32_i16 s8, s74
	s_cmp_lt_i32 s8, 6
	s_cbranch_scc1 .LBB19_978
; %bb.976:
	s_cmp_gt_i32 s8, 6
	s_cbranch_scc0 .LBB19_979
; %bb.977:
	global_load_dwordx2 v[4:5], v[2:3], off
	s_mov_b64 s[8:9], 0
	s_waitcnt vmcnt(0)
	v_cvt_f32_f64_e32 v1, v[4:5]
	s_branch .LBB19_980
.LBB19_978:
	s_mov_b64 s[8:9], -1
                                        ; implicit-def: $vgpr1
	s_branch .LBB19_983
.LBB19_979:
	s_mov_b64 s[8:9], -1
                                        ; implicit-def: $vgpr1
.LBB19_980:
	s_andn2_b64 vcc, exec, s[8:9]
	s_cbranch_vccnz .LBB19_982
; %bb.981:
	global_load_dword v1, v[2:3], off
.LBB19_982:
	s_mov_b64 s[8:9], 0
.LBB19_983:
	s_andn2_b64 vcc, exec, s[8:9]
	s_cbranch_vccnz .LBB19_985
; %bb.984:
	global_load_ushort v1, v[2:3], off
	s_waitcnt vmcnt(0)
	v_cvt_f32_f16_e32 v1, v1
.LBB19_985:
	s_cbranch_execnz .LBB19_1004
.LBB19_986:
	s_sext_i32_i16 s8, s74
	s_cmp_lt_i32 s8, 2
	s_cbranch_scc1 .LBB19_990
; %bb.987:
	s_cmp_lt_i32 s8, 3
	s_cbranch_scc1 .LBB19_991
; %bb.988:
	s_cmp_gt_i32 s8, 3
	s_cbranch_scc0 .LBB19_992
; %bb.989:
	global_load_dwordx2 v[4:5], v[2:3], off
	s_mov_b64 s[8:9], 0
	s_waitcnt vmcnt(0)
	v_xor_b32_e32 v6, v4, v5
	v_ffbh_i32_e32 v1, v5
	v_ashrrev_i32_e32 v6, 31, v6
	v_add_u32_e32 v1, -1, v1
	v_add_u32_e32 v6, 32, v6
	v_min_u32_e32 v1, v1, v6
	v_lshlrev_b64 v[4:5], v1, v[4:5]
	v_min_u32_e32 v4, 1, v4
	v_or_b32_e32 v4, v5, v4
	v_cvt_f32_i32_e32 v4, v4
	v_sub_u32_e32 v1, 32, v1
	v_ldexp_f32 v1, v4, v1
	s_branch .LBB19_993
.LBB19_990:
                                        ; implicit-def: $vgpr1
	s_branch .LBB19_999
.LBB19_991:
	s_mov_b64 s[8:9], -1
                                        ; implicit-def: $vgpr1
	s_branch .LBB19_996
.LBB19_992:
	s_mov_b64 s[8:9], -1
                                        ; implicit-def: $vgpr1
.LBB19_993:
	s_andn2_b64 vcc, exec, s[8:9]
	s_cbranch_vccnz .LBB19_995
; %bb.994:
	global_load_dword v1, v[2:3], off
	s_waitcnt vmcnt(0)
	v_cvt_f32_i32_e32 v1, v1
.LBB19_995:
	s_mov_b64 s[8:9], 0
.LBB19_996:
	s_andn2_b64 vcc, exec, s[8:9]
	s_cbranch_vccnz .LBB19_998
; %bb.997:
	global_load_sshort v1, v[2:3], off
	s_waitcnt vmcnt(0)
	v_cvt_f32_i32_e32 v1, v1
.LBB19_998:
	s_cbranch_execnz .LBB19_1004
.LBB19_999:
	s_sext_i32_i16 s8, s74
	s_cmp_gt_i32 s8, 0
	s_cbranch_scc0 .LBB19_1001
; %bb.1000:
	global_load_sbyte v1, v[2:3], off
	s_mov_b64 s[8:9], 0
	s_waitcnt vmcnt(0)
	v_cvt_f32_i32_e32 v1, v1
	s_branch .LBB19_1002
.LBB19_1001:
	s_mov_b64 s[8:9], -1
                                        ; implicit-def: $vgpr1
.LBB19_1002:
	s_andn2_b64 vcc, exec, s[8:9]
	s_cbranch_vccnz .LBB19_1004
; %bb.1003:
	global_load_ubyte v1, v[2:3], off
	s_waitcnt vmcnt(0)
	v_cvt_f32_ubyte0_e32 v1, v1
.LBB19_1004:
	s_or_b64 s[2:3], s[2:3], exec
.LBB19_1005:
	s_or_b64 exec, exec, s[6:7]
	s_mov_b64 s[10:11], 0
	s_mov_b64 s[8:9], 0
                                        ; implicit-def: $sgpr16
                                        ; implicit-def: $vgpr4_vgpr5
                                        ; implicit-def: $vgpr2
	s_and_saveexec_b64 s[6:7], s[2:3]
	s_cbranch_execz .LBB19_1035
; %bb.1006:
	s_mov_b32 s2, 0x41000000
	s_waitcnt vmcnt(0)
	v_cmp_le_f32_e64 s[2:3], |v1|, s2
                                        ; implicit-def: $vgpr2
	s_and_saveexec_b64 s[8:9], s[2:3]
	s_xor_b64 s[8:9], exec, s[8:9]
	s_cbranch_execz .LBB19_1012
; %bb.1007:
	v_fma_f32 v2, |v1|, 0.5, -2.0
	v_mov_b32_e32 v3, 0xa3c2be86
	v_fmac_f32_e32 v3, 0x224cf950, v2
	v_fmaak_f32 v4, v2, v3, 0xa24cf950
	v_add_f32_e32 v4, 0x25331f1f, v4
	v_fma_f32 v3, v2, v4, -v3
	v_add_f32_e32 v3, 0xa69f5554, v3
	v_fma_f32 v4, v2, v3, -v4
	;; [unrolled: 2-line block ×25, first 2 shown]
	v_add_f32_e32 v3, 0xbe34a688, v3
	s_mov_b32 s2, 0x3fb8aa3b
	v_fma_f32 v2, v2, v3, -v4
	v_mul_f32_e64 v3, |v1|, s2
	v_rndne_f32_e32 v5, v3
	v_sub_f32_e32 v6, v3, v5
	v_fma_f32 v3, |v1|, s2, -v3
	s_mov_b32 s2, 0x32a5705f
	v_fma_f32 v3, |v1|, s2, v3
	v_add_f32_e32 v3, v6, v3
	v_exp_f32_e32 v6, v3
	v_cvt_i32_f32_e32 v5, v5
	v_add_f32_e32 v2, 0x3e81531c, v2
	v_sub_f32_e32 v2, v2, v4
	v_mul_f32_e32 v2, 0.5, v2
	s_mov_b32 s2, 0xc2ce8ed0
	v_mul_f32_e64 v3, |v1|, v2
	v_ldexp_f32 v2, v6, v5
	v_cmp_nlt_f32_e64 s[2:3], |v1|, s2
	v_mov_b32_e32 v4, 0x7f800000
	v_cmp_ngt_f32_e32 vcc, 0, v1
	v_cndmask_b32_e64 v2, 0, v2, s[2:3]
	s_mov_b32 s2, 0x42b17218
	v_cmp_ngt_f32_e64 s[2:3], |v1|, s2
	s_nop 1
	v_cndmask_b32_e64 v1, v4, v2, s[2:3]
                                        ; implicit-def: $vgpr2
	s_and_saveexec_b64 s[2:3], vcc
	s_xor_b64 s[2:3], exec, s[2:3]
; %bb.1008:
	v_mul_f32_e32 v2, v1, v3
                                        ; implicit-def: $vgpr1
                                        ; implicit-def: $vgpr3
; %bb.1009:
	s_andn2_saveexec_b64 s[2:3], s[2:3]
; %bb.1010:
	v_mul_f32_e64 v2, v3, -v1
; %bb.1011:
	s_or_b64 exec, exec, s[2:3]
                                        ; implicit-def: $vgpr1
.LBB19_1012:
	s_andn2_saveexec_b64 s[8:9], s[8:9]
	s_cbranch_execz .LBB19_1018
; %bb.1013:
	v_and_b32_e32 v2, 0x7fffffff, v1
	s_mov_b32 s10, 0x42000000
	v_div_scale_f32 v3, s[2:3], v2, v2, s10
	v_rcp_f32_e32 v4, v3
	v_div_scale_f32 v2, vcc, s10, v2, s10
	s_mov_b32 s2, 0x3fb8aa3b
	v_fma_f32 v5, -v3, v4, 1.0
	v_fmac_f32_e32 v4, v5, v4
	v_mul_f32_e32 v5, v2, v4
	v_fma_f32 v6, -v3, v5, v2
	v_fmac_f32_e32 v5, v6, v4
	v_fma_f32 v2, -v3, v5, v2
	v_div_fmas_f32 v2, v2, v4, v5
	v_div_fixup_f32 v2, v2, |v1|, s10
	v_add_f32_e32 v2, -2.0, v2
	v_mov_b32_e32 v3, 0x22a2dc57
	v_fmac_f32_e32 v3, 0x230aab6e, v2
	v_fmaak_f32 v4, v2, v3, 0xa30aab6e
	v_add_f32_e32 v4, 0xa456751e, v4
	v_fma_f32 v3, v2, v4, -v3
	v_add_f32_e32 v3, 0xa4140365, v3
	v_fma_f32 v4, v2, v3, -v4
	;; [unrolled: 2-line block ×17, first 2 shown]
	v_add_f32_e32 v3, 0xb2e20a9d, v3
	v_mul_f32_e64 v5, |v1|, s2
	v_fma_f32 v4, v2, v3, -v4
	v_rndne_f32_e32 v6, v5
	v_add_f32_e32 v4, 0xb486dfe9, v4
	v_sub_f32_e32 v7, v5, v6
	v_fma_f32 v5, |v1|, s2, -v5
	s_mov_b32 s2, 0x32a5705f
	v_fma_f32 v3, v2, v4, -v3
	v_fma_f32 v5, |v1|, s2, v5
	v_add_f32_e32 v3, 0xb68246fa, v3
	v_add_f32_e32 v5, v7, v5
	v_fma_f32 v4, v2, v3, -v4
	v_exp_f32_e32 v5, v5
	v_cvt_i32_f32_e32 v6, v6
	v_add_f32_e32 v4, 0xb8e7ebfc, v4
	v_fma_f32 v3, v2, v4, -v3
	v_add_f32_e32 v3, 0xbc1fed03, v3
	s_mov_b32 s2, 0xc2ce8ed0
	v_fma_f32 v2, v2, v3, -v4
	v_ldexp_f32 v3, v5, v6
	v_cmp_nlt_f32_e64 s[2:3], |v1|, s2
	v_add_f32_e32 v2, 0x3f4750c6, v2
	v_mov_b32_e32 v5, 0x7f800000
	v_cndmask_b32_e64 v3, 0, v3, s[2:3]
	s_mov_b32 s2, 0x42b17218
	v_cmp_ngt_f32_e64 s[2:3], |v1|, s2
	v_cmp_ngt_f32_e32 vcc, 0, v1
	v_sub_f32_e32 v4, v2, v4
	v_cndmask_b32_e64 v3, v5, v3, s[2:3]
                                        ; implicit-def: $vgpr2
	s_and_saveexec_b64 s[2:3], vcc
	s_xor_b64 s[10:11], exec, s[2:3]
	s_cbranch_execz .LBB19_1015
; %bb.1014:
	s_mov_b32 s2, 0xf800000
	s_mov_b32 s3, 0x4f800000
	v_mul_f32_e64 v2, |v1|, s3
	v_cmp_lt_f32_e64 vcc, |v1|, s2
	v_mul_f32_e32 v4, 0.5, v4
	v_mul_f32_e32 v3, v3, v4
	v_cndmask_b32_e64 v1, |v1|, v2, vcc
	v_sqrt_f32_e32 v2, v1
	s_nop 0
	v_add_u32_e32 v4, -1, v2
	v_fma_f32 v5, -v4, v2, v1
	v_cmp_ge_f32_e64 s[2:3], 0, v5
	v_add_u32_e32 v5, 1, v2
	s_nop 0
	v_cndmask_b32_e64 v4, v2, v4, s[2:3]
	v_fma_f32 v2, -v5, v2, v1
	v_cmp_lt_f32_e64 s[2:3], 0, v2
	s_nop 1
	v_cndmask_b32_e64 v2, v4, v5, s[2:3]
	v_mul_f32_e32 v4, 0x37800000, v2
	v_cndmask_b32_e32 v2, v2, v4, vcc
	v_mov_b32_e32 v4, 0x260
	v_cmp_class_f32_e32 vcc, v1, v4
	s_nop 1
	v_cndmask_b32_e32 v1, v2, v1, vcc
	v_div_scale_f32 v2, s[2:3], v1, v1, v3
	v_rcp_f32_e32 v4, v2
	s_nop 0
	v_fma_f32 v5, -v2, v4, 1.0
	v_fmac_f32_e32 v4, v5, v4
	v_div_scale_f32 v5, vcc, v3, v1, v3
	v_mul_f32_e32 v6, v5, v4
	v_fma_f32 v7, -v2, v6, v5
	v_fmac_f32_e32 v6, v7, v4
	v_fma_f32 v2, -v2, v6, v5
	v_div_fmas_f32 v2, v2, v4, v6
	v_div_fixup_f32 v2, v2, v1, v3
                                        ; implicit-def: $vgpr1
                                        ; implicit-def: $vgpr4
                                        ; implicit-def: $vgpr3
.LBB19_1015:
	s_andn2_saveexec_b64 s[10:11], s[10:11]
	s_cbranch_execz .LBB19_1017
; %bb.1016:
	s_mov_b32 s2, 0xf800000
	s_mov_b32 s3, 0x4f800000
	v_mul_f32_e64 v2, |v1|, s3
	v_cmp_lt_f32_e64 vcc, |v1|, s2
	s_nop 1
	v_cndmask_b32_e64 v1, |v1|, v2, vcc
	v_sqrt_f32_e32 v2, v1
	s_nop 0
	v_add_u32_e32 v5, -1, v2
	v_fma_f32 v6, -v5, v2, v1
	v_cmp_ge_f32_e64 s[2:3], 0, v6
	v_add_u32_e32 v6, 1, v2
	s_nop 0
	v_cndmask_b32_e64 v5, v2, v5, s[2:3]
	v_fma_f32 v2, -v6, v2, v1
	v_cmp_lt_f32_e64 s[2:3], 0, v2
	s_nop 1
	v_cndmask_b32_e64 v2, v5, v6, s[2:3]
	v_mul_f32_e32 v5, 0x37800000, v2
	v_cndmask_b32_e32 v2, v2, v5, vcc
	v_mov_b32_e32 v5, 0x260
	v_cmp_class_f32_e32 vcc, v1, v5
	s_nop 1
	v_cndmask_b32_e32 v1, v2, v1, vcc
	v_mul_f32_e32 v2, -0.5, v4
	v_mul_f32_e32 v2, v3, v2
	v_div_scale_f32 v3, s[2:3], v1, v1, v2
	v_rcp_f32_e32 v4, v3
	s_nop 0
	v_fma_f32 v5, -v3, v4, 1.0
	v_fmac_f32_e32 v4, v5, v4
	v_div_scale_f32 v5, vcc, v2, v1, v2
	v_mul_f32_e32 v6, v5, v4
	v_fma_f32 v7, -v3, v6, v5
	v_fmac_f32_e32 v6, v7, v4
	v_fma_f32 v3, -v3, v6, v5
	v_div_fmas_f32 v3, v3, v4, v6
	v_div_fixup_f32 v2, v3, v1, v2
.LBB19_1017:
	s_or_b64 exec, exec, s[10:11]
.LBB19_1018:
	s_or_b64 exec, exec, s[8:9]
	v_mov_b32_e32 v1, 0
	s_and_b32 s16, s73, 0xff
	s_cmp_lt_i32 s16, 11
	s_waitcnt lgkmcnt(0)
	v_lshl_add_u64 v[4:5], s[20:21], 0, v[0:1]
	s_cbranch_scc1 .LBB19_1038
; %bb.1019:
	s_and_b32 s17, 0xffff, s16
	s_mov_b64 s[10:11], -1
	s_cmp_gt_i32 s17, 25
	s_mov_b64 s[2:3], s[54:55]
	s_cbranch_scc0 .LBB19_1056
; %bb.1020:
	s_mov_b64 s[8:9], -1
	s_cmp_gt_i32 s17, 28
	s_mov_b64 s[2:3], s[54:55]
	s_cbranch_scc0 .LBB19_1040
; %bb.1021:
	s_cmp_gt_i32 s17, 43
	s_mov_b64 s[2:3], s[54:55]
	s_cbranch_scc0 .LBB19_1032
; %bb.1022:
	;; [unrolled: 4-line block ×3, first 2 shown]
	s_cmp_eq_u32 s17, 46
	s_mov_b64 s[2:3], -1
	s_cbranch_scc0 .LBB19_1025
; %bb.1024:
	v_bfe_u32 v0, v2, 16, 1
	s_movk_i32 s2, 0x7fff
	v_add3_u32 v0, v2, v0, s2
	v_cmp_o_f32_e32 vcc, v2, v2
	v_mov_b32_e32 v1, 0x7fc0
	s_mov_b64 s[2:3], 0
	v_cndmask_b32_sdwa v0, v1, v0, vcc dst_sel:DWORD dst_unused:UNUSED_PAD src0_sel:DWORD src1_sel:WORD_1
	global_store_dword v[4:5], v0, off
.LBB19_1025:
	s_mov_b64 s[8:9], 0
.LBB19_1026:
	s_and_b64 vcc, exec, s[8:9]
	s_cbranch_vccz .LBB19_1031
; %bb.1027:
	s_cmp_eq_u32 s17, 44
	s_mov_b64 s[2:3], -1
	s_cbranch_scc0 .LBB19_1031
; %bb.1028:
	v_bfe_u32 v0, v2, 23, 8
	s_movk_i32 s2, 0xff
	v_cmp_ne_u32_e32 vcc, s2, v0
	v_mov_b32_e32 v1, 0xff
	s_and_saveexec_b64 s[8:9], vcc
; %bb.1029:
	s_mov_b32 s2, 0x3fffff
	v_and_b32_e32 v3, 0x400000, v2
	v_and_or_b32 v0, v2, s2, v0
	v_cmp_ne_u32_e32 vcc, 0, v3
	v_cmp_ne_u32_e64 s[2:3], 0, v0
	s_and_b64 s[2:3], vcc, s[2:3]
	v_lshrrev_b32_e32 v1, 23, v2
	v_cndmask_b32_e64 v0, 0, 1, s[2:3]
	v_add_u32_e32 v1, v1, v0
; %bb.1030:
	s_or_b64 exec, exec, s[8:9]
	s_mov_b64 s[2:3], 0
	global_store_byte v[4:5], v1, off
.LBB19_1031:
	s_mov_b64 s[8:9], 0
.LBB19_1032:
	s_and_b64 vcc, exec, s[8:9]
	s_cbranch_vccz .LBB19_1039
; %bb.1033:
	s_cmp_eq_u32 s17, 29
	s_mov_b64 s[2:3], -1
	s_cbranch_scc0 .LBB19_1039
; %bb.1034:
	v_trunc_f32_e32 v0, v2
	v_mul_f32_e32 v1, 0x2f800000, v0
	v_floor_f32_e32 v3, v1
	v_fmamk_f32 v0, v3, 0xcf800000, v0
	v_cvt_u32_f32_e32 v1, v3
	v_cvt_u32_f32_e32 v0, v0
	s_mov_b64 s[2:3], 0
	s_mov_b64 s[8:9], 0
	global_store_dwordx2 v[4:5], v[0:1], off
	s_branch .LBB19_1040
.LBB19_1035:
	s_or_b64 exec, exec, s[6:7]
	s_and_saveexec_b64 s[2:3], s[54:55]
	s_cbranch_execnz .LBB19_1098
.LBB19_1036:
	s_or_b64 exec, exec, s[2:3]
	s_and_saveexec_b64 s[2:3], s[10:11]
	s_xor_b64 s[2:3], exec, s[2:3]
	s_cbranch_execz .LBB19_1099
.LBB19_1037:
	v_cmp_neq_f32_e32 vcc, 0, v2
	s_nop 1
	v_cndmask_b32_e64 v0, 0, 1, vcc
	global_store_byte v[4:5], v0, off
	s_or_b64 exec, exec, s[2:3]
	s_and_saveexec_b64 s[2:3], s[8:9]
	s_xor_b64 s[2:3], exec, s[2:3]
	s_cbranch_execz .LBB19_1137
	s_branch .LBB19_1100
.LBB19_1038:
	s_mov_b64 s[10:11], 0
	s_mov_b64 s[8:9], -1
	s_mov_b64 s[2:3], s[54:55]
	s_branch .LBB19_1097
.LBB19_1039:
	s_mov_b64 s[8:9], 0
.LBB19_1040:
	s_and_b64 vcc, exec, s[8:9]
	s_cbranch_vccz .LBB19_1055
; %bb.1041:
	s_cmp_lt_i32 s17, 27
	s_mov_b64 s[8:9], -1
	s_cbranch_scc1 .LBB19_1047
; %bb.1042:
	s_cmp_gt_i32 s17, 27
	s_cbranch_scc0 .LBB19_1044
; %bb.1043:
	v_cvt_u32_f32_e32 v0, v2
	s_mov_b64 s[8:9], 0
	global_store_dword v[4:5], v0, off
.LBB19_1044:
	s_andn2_b64 vcc, exec, s[8:9]
	s_cbranch_vccnz .LBB19_1046
; %bb.1045:
	v_cvt_u32_f32_e32 v0, v2
	global_store_short v[4:5], v0, off
.LBB19_1046:
	s_mov_b64 s[8:9], 0
.LBB19_1047:
	s_andn2_b64 vcc, exec, s[8:9]
	s_cbranch_vccnz .LBB19_1055
; %bb.1048:
	v_and_b32_e32 v0, 0x7fffffff, v2
	s_mov_b32 s8, 0x43800000
	v_cmp_gt_u32_e32 vcc, s8, v0
	v_mov_b32_e32 v1, 0x80
	s_and_saveexec_b64 s[8:9], vcc
	s_cbranch_execz .LBB19_1054
; %bb.1049:
	s_mov_b32 s10, 0x3bffffff
	v_cmp_lt_u32_e32 vcc, s10, v0
	s_mov_b64 s[10:11], 0
                                        ; implicit-def: $vgpr0
	s_and_saveexec_b64 s[12:13], vcc
	s_xor_b64 s[12:13], exec, s[12:13]
	s_cbranch_execz .LBB19_1208
; %bb.1050:
	v_bfe_u32 v0, v2, 20, 1
	s_mov_b32 s14, 0x487ffff
	v_add3_u32 v0, v2, v0, s14
	s_mov_b64 s[10:11], exec
	v_lshrrev_b32_e32 v0, 20, v0
	s_andn2_saveexec_b64 s[12:13], s[12:13]
	s_cbranch_execnz .LBB19_1209
.LBB19_1051:
	s_or_b64 exec, exec, s[12:13]
	v_mov_b32_e32 v1, 0
	s_and_saveexec_b64 s[12:13], s[10:11]
.LBB19_1052:
	v_lshrrev_b32_e32 v1, 24, v2
	s_movk_i32 s10, 0x80
	v_and_or_b32 v1, v1, s10, v0
.LBB19_1053:
	s_or_b64 exec, exec, s[12:13]
.LBB19_1054:
	s_or_b64 exec, exec, s[8:9]
	global_store_byte v[4:5], v1, off
.LBB19_1055:
	s_mov_b64 s[10:11], 0
.LBB19_1056:
	s_mov_b64 s[8:9], 0
	s_and_b64 vcc, exec, s[10:11]
	s_cbranch_vccz .LBB19_1096
; %bb.1057:
	s_cmp_gt_i32 s17, 22
	s_mov_b64 s[10:11], -1
	s_cbranch_scc0 .LBB19_1089
; %bb.1058:
	s_cmp_lt_i32 s17, 24
	s_cbranch_scc1 .LBB19_1078
; %bb.1059:
	s_cmp_gt_i32 s17, 24
	s_cbranch_scc0 .LBB19_1067
; %bb.1060:
	v_and_b32_e32 v0, 0x7fffffff, v2
	s_mov_b32 s10, 0x47800000
	v_cmp_gt_u32_e32 vcc, s10, v0
	v_mov_b32_e32 v1, 0x80
	s_and_saveexec_b64 s[10:11], vcc
	s_cbranch_execz .LBB19_1066
; %bb.1061:
	s_mov_b32 s12, 0x37ffffff
	v_cmp_lt_u32_e32 vcc, s12, v0
	s_mov_b64 s[12:13], 0
                                        ; implicit-def: $vgpr0
	s_and_saveexec_b64 s[14:15], vcc
	s_xor_b64 s[14:15], exec, s[14:15]
	s_cbranch_execz .LBB19_1345
; %bb.1062:
	v_bfe_u32 v0, v2, 21, 1
	s_mov_b32 s18, 0x88fffff
	v_add3_u32 v0, v2, v0, s18
	s_mov_b64 s[12:13], exec
	v_lshrrev_b32_e32 v0, 21, v0
	s_andn2_saveexec_b64 s[14:15], s[14:15]
	s_cbranch_execnz .LBB19_1346
.LBB19_1063:
	s_or_b64 exec, exec, s[14:15]
	v_mov_b32_e32 v1, 0
	s_and_saveexec_b64 s[14:15], s[12:13]
.LBB19_1064:
	v_lshrrev_b32_e32 v1, 24, v2
	s_movk_i32 s12, 0x80
	v_and_or_b32 v1, v1, s12, v0
.LBB19_1065:
	s_or_b64 exec, exec, s[14:15]
.LBB19_1066:
	s_or_b64 exec, exec, s[10:11]
	s_mov_b64 s[10:11], 0
	global_store_byte v[4:5], v1, off
.LBB19_1067:
	s_and_b64 vcc, exec, s[10:11]
	s_cbranch_vccz .LBB19_1077
; %bb.1068:
	v_and_b32_e32 v1, 0x7fffffff, v2
	s_mov_b32 s10, 0x43f00000
	v_cmp_gt_u32_e32 vcc, s10, v1
                                        ; implicit-def: $vgpr0
	s_and_saveexec_b64 s[10:11], vcc
	s_xor_b64 s[10:11], exec, s[10:11]
	s_cbranch_execz .LBB19_1074
; %bb.1069:
	s_mov_b32 s12, 0x3c7fffff
	v_cmp_lt_u32_e32 vcc, s12, v1
                                        ; implicit-def: $vgpr0
	s_and_saveexec_b64 s[12:13], vcc
	s_xor_b64 s[12:13], exec, s[12:13]
; %bb.1070:
	v_bfe_u32 v0, v2, 20, 1
	s_mov_b32 s14, 0x407ffff
	v_add3_u32 v0, v2, v0, s14
	v_lshrrev_b32_e32 v1, 20, v0
	v_and_b32_e32 v0, 0xff00000, v0
	s_mov_b32 s14, 0x7f00000
	v_mov_b32_e32 v3, 0x7e
	v_cmp_ne_u32_e32 vcc, s14, v0
	s_nop 1
	v_cndmask_b32_e32 v0, v3, v1, vcc
; %bb.1071:
	s_andn2_saveexec_b64 s[12:13], s[12:13]
; %bb.1072:
	s_mov_b32 s14, 0x46800000
	v_add_f32_e64 v0, |v2|, s14
; %bb.1073:
	s_or_b64 exec, exec, s[12:13]
                                        ; implicit-def: $vgpr1
.LBB19_1074:
	s_andn2_saveexec_b64 s[10:11], s[10:11]
; %bb.1075:
	s_mov_b32 s12, 0x7f800000
	v_mov_b32_e32 v0, 0x7e
	v_mov_b32_e32 v3, 0x7f
	v_cmp_lt_u32_e32 vcc, s12, v1
	s_nop 1
	v_cndmask_b32_e32 v0, v0, v3, vcc
; %bb.1076:
	s_or_b64 exec, exec, s[10:11]
	v_lshrrev_b32_e32 v1, 24, v2
	s_movk_i32 s10, 0x80
	v_and_or_b32 v0, v1, s10, v0
	global_store_byte v[4:5], v0, off
.LBB19_1077:
	s_mov_b64 s[10:11], 0
.LBB19_1078:
	s_andn2_b64 vcc, exec, s[10:11]
	s_cbranch_vccnz .LBB19_1088
; %bb.1079:
	v_and_b32_e32 v1, 0x7fffffff, v2
	s_mov_b32 s10, 0x47800000
	v_cmp_gt_u32_e32 vcc, s10, v1
                                        ; implicit-def: $vgpr0
	s_and_saveexec_b64 s[10:11], vcc
	s_xor_b64 s[10:11], exec, s[10:11]
	s_cbranch_execz .LBB19_1085
; %bb.1080:
	s_mov_b32 s12, 0x387fffff
	v_cmp_lt_u32_e32 vcc, s12, v1
                                        ; implicit-def: $vgpr0
	s_and_saveexec_b64 s[12:13], vcc
	s_xor_b64 s[12:13], exec, s[12:13]
; %bb.1081:
	v_bfe_u32 v0, v2, 21, 1
	s_mov_b32 s14, 0x80fffff
	v_add3_u32 v0, v2, v0, s14
	v_lshrrev_b32_e32 v0, 21, v0
; %bb.1082:
	s_andn2_saveexec_b64 s[12:13], s[12:13]
; %bb.1083:
	s_mov_b32 s14, 0x43000000
	v_add_f32_e64 v0, |v2|, s14
; %bb.1084:
	s_or_b64 exec, exec, s[12:13]
                                        ; implicit-def: $vgpr1
.LBB19_1085:
	s_andn2_saveexec_b64 s[10:11], s[10:11]
; %bb.1086:
	s_mov_b32 s12, 0x7f800000
	v_mov_b32_e32 v0, 0x7c
	v_mov_b32_e32 v3, 0x7f
	v_cmp_lt_u32_e32 vcc, s12, v1
	s_nop 1
	v_cndmask_b32_e32 v0, v0, v3, vcc
; %bb.1087:
	s_or_b64 exec, exec, s[10:11]
	v_lshrrev_b32_e32 v1, 24, v2
	s_movk_i32 s10, 0x80
	v_and_or_b32 v0, v1, s10, v0
	global_store_byte v[4:5], v0, off
.LBB19_1088:
	s_mov_b64 s[10:11], 0
.LBB19_1089:
	s_andn2_b64 vcc, exec, s[10:11]
	s_mov_b64 s[10:11], 0
	s_cbranch_vccnz .LBB19_1097
; %bb.1090:
	s_cmp_gt_i32 s17, 14
	s_mov_b64 s[12:13], -1
	s_cbranch_scc0 .LBB19_1094
; %bb.1091:
	s_cmp_eq_u32 s17, 15
	s_mov_b64 s[2:3], -1
	s_cbranch_scc0 .LBB19_1093
; %bb.1092:
	v_bfe_u32 v0, v2, 16, 1
	s_movk_i32 s2, 0x7fff
	v_add3_u32 v0, v2, v0, s2
	v_cmp_o_f32_e32 vcc, v2, v2
	v_mov_b32_e32 v1, 0x7fc0
	s_mov_b64 s[2:3], 0
	v_cndmask_b32_sdwa v0, v1, v0, vcc dst_sel:DWORD dst_unused:UNUSED_PAD src0_sel:DWORD src1_sel:WORD_1
	global_store_short v[4:5], v0, off
.LBB19_1093:
	s_mov_b64 s[12:13], 0
.LBB19_1094:
	s_and_b64 vcc, exec, s[12:13]
	s_cbranch_vccz .LBB19_1097
; %bb.1095:
	s_cmp_lg_u32 s17, 11
	s_cselect_b64 s[12:13], -1, 0
	s_andn2_b64 s[2:3], s[2:3], exec
	s_and_b64 s[12:13], s[12:13], exec
	s_mov_b64 s[10:11], -1
	s_or_b64 s[2:3], s[2:3], s[12:13]
	s_branch .LBB19_1097
.LBB19_1096:
	s_mov_b64 s[10:11], 0
.LBB19_1097:
	s_andn2_b64 s[12:13], s[54:55], exec
	s_and_b64 s[2:3], s[2:3], exec
	s_and_b64 s[8:9], s[8:9], exec
	;; [unrolled: 1-line block ×3, first 2 shown]
	s_or_b64 s[54:55], s[12:13], s[2:3]
	s_or_b64 exec, exec, s[6:7]
	s_and_saveexec_b64 s[2:3], s[54:55]
	s_cbranch_execz .LBB19_1036
.LBB19_1098:
	s_or_b64 s[4:5], s[4:5], exec
	s_andn2_b64 s[10:11], s[10:11], exec
	s_trap 2
	s_or_b64 exec, exec, s[2:3]
	s_and_saveexec_b64 s[2:3], s[10:11]
	s_xor_b64 s[2:3], exec, s[2:3]
	s_cbranch_execnz .LBB19_1037
.LBB19_1099:
	s_or_b64 exec, exec, s[2:3]
	s_and_saveexec_b64 s[2:3], s[8:9]
	s_xor_b64 s[2:3], exec, s[2:3]
	s_cbranch_execz .LBB19_1137
.LBB19_1100:
	s_sext_i32_i16 s8, s16
	s_cmp_lt_i32 s8, 5
	s_mov_b64 s[6:7], -1
	s_cbranch_scc1 .LBB19_1121
; %bb.1101:
	s_cmp_lt_i32 s8, 8
	s_cbranch_scc1 .LBB19_1111
; %bb.1102:
	s_cmp_lt_i32 s8, 9
	s_cbranch_scc1 .LBB19_1108
; %bb.1103:
	s_cmp_gt_i32 s8, 9
	s_cbranch_scc0 .LBB19_1105
; %bb.1104:
	v_mov_b32_e32 v8, 0
	v_cvt_f64_f32_e32 v[6:7], v2
	v_mov_b32_e32 v9, v8
	s_mov_b64 s[6:7], 0
	global_store_dwordx4 v[4:5], v[6:9], off
.LBB19_1105:
	s_andn2_b64 vcc, exec, s[6:7]
	s_cbranch_vccnz .LBB19_1107
; %bb.1106:
	v_mov_b32_e32 v3, 0
	global_store_dwordx2 v[4:5], v[2:3], off
.LBB19_1107:
	s_mov_b64 s[6:7], 0
.LBB19_1108:
	s_andn2_b64 vcc, exec, s[6:7]
	s_cbranch_vccnz .LBB19_1110
; %bb.1109:
	v_cvt_f16_f32_e32 v0, v2
	global_store_dword v[4:5], v0, off
.LBB19_1110:
	s_mov_b64 s[6:7], 0
.LBB19_1111:
	s_andn2_b64 vcc, exec, s[6:7]
	s_cbranch_vccnz .LBB19_1120
; %bb.1112:
	s_sext_i32_i16 s8, s16
	s_cmp_lt_i32 s8, 6
	s_mov_b64 s[6:7], -1
	s_cbranch_scc1 .LBB19_1118
; %bb.1113:
	s_cmp_gt_i32 s8, 6
	s_cbranch_scc0 .LBB19_1115
; %bb.1114:
	s_waitcnt vmcnt(0)
	v_cvt_f64_f32_e32 v[0:1], v2
	s_mov_b64 s[6:7], 0
	global_store_dwordx2 v[4:5], v[0:1], off
.LBB19_1115:
	s_andn2_b64 vcc, exec, s[6:7]
	s_cbranch_vccnz .LBB19_1117
; %bb.1116:
	global_store_dword v[4:5], v2, off
.LBB19_1117:
	s_mov_b64 s[6:7], 0
.LBB19_1118:
	s_andn2_b64 vcc, exec, s[6:7]
	s_cbranch_vccnz .LBB19_1120
; %bb.1119:
	v_cvt_f16_f32_e32 v0, v2
	global_store_short v[4:5], v0, off
.LBB19_1120:
	s_mov_b64 s[6:7], 0
.LBB19_1121:
	s_andn2_b64 vcc, exec, s[6:7]
	s_cbranch_vccnz .LBB19_1137
; %bb.1122:
	s_sext_i32_i16 s8, s16
	s_cmp_lt_i32 s8, 2
	s_mov_b64 s[6:7], -1
	s_cbranch_scc1 .LBB19_1132
; %bb.1123:
	s_cmp_lt_i32 s8, 3
	s_cbranch_scc1 .LBB19_1129
; %bb.1124:
	s_cmp_gt_i32 s8, 3
	s_cbranch_scc0 .LBB19_1126
; %bb.1125:
	v_trunc_f32_e32 v0, v2
	s_mov_b32 s6, 0x2f800000
	s_waitcnt vmcnt(0)
	v_mul_f32_e64 v1, |v0|, s6
	v_floor_f32_e32 v1, v1
	s_mov_b32 s6, 0xcf800000
	v_cvt_u32_f32_e32 v3, v1
	v_fma_f32 v1, v1, s6, |v0|
	v_cvt_u32_f32_e32 v1, v1
	v_ashrrev_i32_e32 v6, 31, v0
	v_xor_b32_e32 v3, v3, v6
	s_mov_b64 s[6:7], 0
	v_xor_b32_e32 v0, v1, v6
	v_sub_co_u32_e32 v0, vcc, v0, v6
	s_nop 1
	v_subb_co_u32_e32 v1, vcc, v3, v6, vcc
	global_store_dwordx2 v[4:5], v[0:1], off
.LBB19_1126:
	s_andn2_b64 vcc, exec, s[6:7]
	s_cbranch_vccnz .LBB19_1128
; %bb.1127:
	v_cvt_i32_f32_e32 v0, v2
	global_store_dword v[4:5], v0, off
.LBB19_1128:
	s_mov_b64 s[6:7], 0
.LBB19_1129:
	s_andn2_b64 vcc, exec, s[6:7]
	s_cbranch_vccnz .LBB19_1131
; %bb.1130:
	v_cvt_i32_f32_e32 v0, v2
	global_store_short v[4:5], v0, off
.LBB19_1131:
	s_mov_b64 s[6:7], 0
.LBB19_1132:
	s_andn2_b64 vcc, exec, s[6:7]
	s_cbranch_vccnz .LBB19_1137
; %bb.1133:
	s_sext_i32_i16 s6, s16
	s_cmp_gt_i32 s6, 0
	s_mov_b64 s[6:7], -1
	s_cbranch_scc0 .LBB19_1135
; %bb.1134:
	v_cvt_i32_f32_e32 v0, v2
	s_mov_b64 s[6:7], 0
	global_store_byte v[4:5], v0, off
.LBB19_1135:
	s_andn2_b64 vcc, exec, s[6:7]
	s_cbranch_vccnz .LBB19_1137
; %bb.1136:
	v_trunc_f32_e32 v0, v2
	s_mov_b32 s6, 0x2f800000
	s_waitcnt vmcnt(0)
	v_mul_f32_e64 v1, |v0|, s6
	v_floor_f32_e32 v1, v1
	s_mov_b32 s6, 0xcf800000
	v_fma_f32 v1, v1, s6, |v0|
	v_cvt_u32_f32_e32 v1, v1
	v_ashrrev_i32_e32 v0, 31, v0
	v_xor_b32_e32 v1, v1, v0
	v_sub_u32_e32 v0, v1, v0
	global_store_byte v[4:5], v0, off
.LBB19_1137:
	s_or_b64 exec, exec, s[2:3]
	s_waitcnt lgkmcnt(0)
	s_and_b64 s[24:25], s[4:5], exec
                                        ; implicit-def: $vgpr16
                                        ; implicit-def: $vgpr12
.LBB19_1138:
	s_or_saveexec_b64 s[26:27], s[44:45]
	s_mov_b64 s[6:7], 0
                                        ; implicit-def: $vgpr0_vgpr1
                                        ; implicit-def: $sgpr14
                                        ; implicit-def: $vgpr14
	s_xor_b64 exec, exec, s[26:27]
	s_cbranch_execz .LBB19_1836
; %bb.1139:
	v_cndmask_b32_e64 v0, 0, 1, s[42:43]
	v_cmp_ne_u32_e64 s[2:3], 1, v0
	s_andn2_b64 vcc, exec, s[42:43]
	s_cbranch_vccnz .LBB19_1145
; %bb.1140:
	s_cmp_lg_u32 s33, 0
	s_mov_b32 s36, 0
	s_cbranch_scc0 .LBB19_1146
; %bb.1141:
	s_min_u32 s37, s72, 15
	s_add_i32 s37, s37, 1
	s_cmp_eq_u32 s72, 2
	s_cbranch_scc1 .LBB19_1147
; %bb.1142:
	s_and_b32 s36, s37, 28
	s_add_u32 s28, s34, 0xc4
	s_addc_u32 s29, s35, 0
	s_mov_b32 s38, 0
	v_mov_b32_e32 v6, 0
	v_mov_b32_e32 v8, 0
	s_mov_b64 s[30:31], s[34:35]
	v_mov_b32_e32 v0, v12
.LBB19_1143:                            ; =>This Inner Loop Header: Depth=1
	s_load_dwordx8 s[12:19], s[30:31], 0x4
	s_load_dwordx4 s[20:23], s[30:31], 0x24
	s_load_dwordx8 s[4:11], s[28:29], 0x0
	s_add_u32 s30, s30, 48
	s_addc_u32 s31, s31, 0
	s_waitcnt vmcnt(0) lgkmcnt(0)
	v_mul_hi_u32 v1, s13, v0
	v_add_u32_e32 v1, v0, v1
	v_lshrrev_b32_e32 v1, s14, v1
	v_mul_lo_u32 v2, v1, s12
	v_mul_hi_u32 v3, s16, v1
	v_sub_u32_e32 v0, v0, v2
	v_add_u32_e32 v2, v1, v3
	v_lshrrev_b32_e32 v2, s17, v2
	v_mul_lo_u32 v4, v2, s15
	v_mul_hi_u32 v5, s19, v2
	v_sub_u32_e32 v1, v1, v4
	v_add_u32_e32 v4, v2, v5
	v_mul_lo_u32 v3, v0, s5
	v_mul_lo_u32 v0, v0, s4
	;; [unrolled: 1-line block ×4, first 2 shown]
	v_lshrrev_b32_e32 v4, s20, v4
	v_add3_u32 v1, v0, v6, v1
	v_add3_u32 v3, v3, v8, v5
	v_mul_lo_u32 v0, v4, s18
	v_mul_hi_u32 v5, s22, v4
	v_sub_u32_e32 v0, v2, v0
	v_add_u32_e32 v2, v4, v5
	v_mul_lo_u32 v5, v0, s8
	v_mul_lo_u32 v6, v0, s9
	v_lshrrev_b32_e32 v0, s23, v2
	s_add_i32 s38, s38, 4
	v_mul_lo_u32 v2, v0, s21
	s_add_u32 s28, s28, 32
	v_sub_u32_e32 v2, v4, v2
	s_addc_u32 s29, s29, 0
	v_mul_lo_u32 v4, v2, s10
	v_mul_lo_u32 v2, v2, s11
	s_cmp_lg_u32 s36, s38
	v_add3_u32 v8, v6, v3, v2
	v_add3_u32 v6, v5, v1, v4
	s_cbranch_scc1 .LBB19_1143
; %bb.1144:
	v_mov_b32_e32 v1, v8
	s_and_b32 s8, s37, 3
	s_cmp_eq_u32 s8, 0
	s_cbranch_scc0 .LBB19_1148
	s_branch .LBB19_1150
.LBB19_1145:
                                        ; implicit-def: $vgpr8
                                        ; implicit-def: $vgpr6
	s_branch .LBB19_1151
.LBB19_1146:
	v_mov_b32_e32 v8, 0
	v_mov_b32_e32 v6, 0
	s_branch .LBB19_1150
.LBB19_1147:
	v_mov_b32_e32 v6, 0
                                        ; implicit-def: $vgpr8
	s_waitcnt vmcnt(0)
	v_mov_b32_e32 v1, v6
	v_mov_b32_e32 v0, v12
	s_and_b32 s8, s37, 3
	s_cmp_eq_u32 s8, 0
	s_cbranch_scc1 .LBB19_1150
.LBB19_1148:
	s_lshl_b32 s4, s36, 3
	s_add_u32 s4, s34, s4
	s_addc_u32 s5, s35, 0
	s_add_u32 s4, s4, 0xc4
	s_addc_u32 s5, s5, 0
	s_mul_i32 s6, s36, 12
	s_add_u32 s6, s34, s6
	s_addc_u32 s7, s35, 0
.LBB19_1149:                            ; =>This Inner Loop Header: Depth=1
	s_load_dwordx2 s[10:11], s[6:7], 0x4
	s_load_dword s9, s[6:7], 0xc
	s_load_dwordx2 s[12:13], s[4:5], 0x0
	v_mov_b32_e32 v2, v1
	s_add_u32 s6, s6, 12
	s_waitcnt lgkmcnt(0)
	v_mul_hi_u32 v1, s11, v0
	v_add_u32_e32 v1, v0, v1
	v_lshrrev_b32_e32 v1, s9, v1
	s_addc_u32 s7, s7, 0
	v_mul_lo_u32 v3, v1, s10
	s_add_u32 s4, s4, 8
	v_sub_u32_e32 v3, v0, v3
	s_addc_u32 s5, s5, 0
	s_add_i32 s8, s8, -1
	v_mad_u64_u32 v[8:9], s[10:11], v3, s13, v[2:3]
	s_cmp_lg_u32 s8, 0
	v_mov_b32_e32 v0, v1
	v_mad_u64_u32 v[6:7], s[10:11], v3, s12, v[6:7]
	v_mov_b32_e32 v1, v8
	s_cbranch_scc1 .LBB19_1149
.LBB19_1150:
	s_cbranch_execnz .LBB19_1153
.LBB19_1151:
	s_load_dwordx4 s[4:7], s[34:35], 0x4
	s_load_dwordx2 s[8:9], s[34:35], 0xc4
	s_cmp_lt_u32 s33, 2
	s_waitcnt lgkmcnt(0)
	v_mul_hi_u32 v0, s5, v12
	v_add_u32_e32 v0, v12, v0
	v_lshrrev_b32_e32 v0, s6, v0
	s_waitcnt vmcnt(0)
	v_mul_lo_u32 v1, v0, s4
	v_sub_u32_e32 v1, v12, v1
	v_mul_lo_u32 v8, v1, s9
	v_mul_lo_u32 v6, v1, s8
	s_cbranch_scc1 .LBB19_1153
; %bb.1152:
	s_load_dwordx4 s[4:7], s[34:35], 0x10
	s_load_dwordx2 s[8:9], s[34:35], 0xcc
	s_waitcnt lgkmcnt(0)
	v_mul_hi_u32 v1, s5, v0
	v_add_u32_e32 v1, v0, v1
	v_lshrrev_b32_e32 v1, s6, v1
	v_mul_lo_u32 v1, v1, s4
	v_sub_u32_e32 v0, v0, v1
	v_mad_u64_u32 v[6:7], s[4:5], v0, s8, v[6:7]
	v_mad_u64_u32 v[8:9], s[4:5], v0, s9, v[8:9]
.LBB19_1153:
	s_and_b64 vcc, exec, s[2:3]
	v_add_u32_e32 v0, 0x80, v12
	s_cbranch_vccnz .LBB19_1159
; %bb.1154:
	s_cmp_lg_u32 s33, 0
	s_mov_b32 s36, 0
	s_cbranch_scc0 .LBB19_1160
; %bb.1155:
	s_min_u32 s37, s72, 15
	s_add_i32 s37, s37, 1
	s_cmp_eq_u32 s72, 2
	s_cbranch_scc1 .LBB19_1161
; %bb.1156:
	s_and_b32 s36, s37, 28
	s_add_u32 s28, s34, 0xc4
	s_addc_u32 s29, s35, 0
	s_mov_b32 s38, 0
	v_mov_b32_e32 v4, 0
	v_mov_b32_e32 v10, 0
	s_mov_b64 s[30:31], s[34:35]
	v_mov_b32_e32 v2, v0
.LBB19_1157:                            ; =>This Inner Loop Header: Depth=1
	s_load_dwordx8 s[12:19], s[30:31], 0x4
	s_load_dwordx4 s[20:23], s[30:31], 0x24
	s_load_dwordx8 s[4:11], s[28:29], 0x0
	s_add_u32 s30, s30, 48
	s_addc_u32 s31, s31, 0
	s_waitcnt vmcnt(0) lgkmcnt(0)
	v_mul_hi_u32 v1, s13, v2
	v_add_u32_e32 v1, v2, v1
	v_lshrrev_b32_e32 v1, s14, v1
	v_mul_lo_u32 v3, v1, s12
	v_mul_hi_u32 v5, s16, v1
	v_sub_u32_e32 v2, v2, v3
	v_add_u32_e32 v3, v1, v5
	v_lshrrev_b32_e32 v3, s17, v3
	v_mul_lo_u32 v7, v3, s15
	v_mul_hi_u32 v9, s19, v3
	v_sub_u32_e32 v1, v1, v7
	v_add_u32_e32 v7, v3, v9
	v_mul_lo_u32 v5, v2, s5
	v_mul_lo_u32 v2, v2, s4
	;; [unrolled: 1-line block ×4, first 2 shown]
	v_lshrrev_b32_e32 v7, s20, v7
	v_add3_u32 v1, v2, v4, v1
	v_add3_u32 v4, v5, v10, v9
	v_mul_lo_u32 v2, v7, s18
	v_mul_hi_u32 v5, s22, v7
	v_sub_u32_e32 v2, v3, v2
	v_add_u32_e32 v3, v7, v5
	v_mul_lo_u32 v5, v2, s8
	v_mul_lo_u32 v9, v2, s9
	v_lshrrev_b32_e32 v2, s23, v3
	s_add_i32 s38, s38, 4
	v_mul_lo_u32 v3, v2, s21
	s_add_u32 s28, s28, 32
	v_sub_u32_e32 v3, v7, v3
	s_addc_u32 s29, s29, 0
	v_mul_lo_u32 v7, v3, s10
	v_mul_lo_u32 v3, v3, s11
	s_cmp_lg_u32 s36, s38
	v_add3_u32 v10, v9, v4, v3
	v_add3_u32 v4, v5, v1, v7
	s_cbranch_scc1 .LBB19_1157
; %bb.1158:
	v_mov_b32_e32 v1, v10
	s_and_b32 s8, s37, 3
	s_cmp_eq_u32 s8, 0
	s_cbranch_scc0 .LBB19_1162
	s_branch .LBB19_1164
.LBB19_1159:
                                        ; implicit-def: $vgpr10
                                        ; implicit-def: $vgpr4
	s_branch .LBB19_1165
.LBB19_1160:
	v_mov_b32_e32 v10, 0
	v_mov_b32_e32 v4, 0
	s_branch .LBB19_1164
.LBB19_1161:
	v_mov_b32_e32 v4, 0
                                        ; implicit-def: $vgpr10
	s_waitcnt vmcnt(0)
	v_mov_b32_e32 v1, v4
	v_mov_b32_e32 v2, v0
	s_and_b32 s8, s37, 3
	s_cmp_eq_u32 s8, 0
	s_cbranch_scc1 .LBB19_1164
.LBB19_1162:
	s_lshl_b32 s4, s36, 3
	s_add_u32 s4, s34, s4
	s_addc_u32 s5, s35, 0
	s_add_u32 s4, s4, 0xc4
	s_addc_u32 s5, s5, 0
	s_mul_i32 s6, s36, 12
	s_add_u32 s6, s34, s6
	s_addc_u32 s7, s35, 0
.LBB19_1163:                            ; =>This Inner Loop Header: Depth=1
	s_load_dwordx2 s[10:11], s[6:7], 0x4
	s_load_dword s9, s[6:7], 0xc
	s_load_dwordx2 s[12:13], s[4:5], 0x0
	v_mov_b32_e32 v10, v1
	s_add_u32 s6, s6, 12
	s_waitcnt lgkmcnt(0)
	v_mul_hi_u32 v1, s11, v2
	v_add_u32_e32 v1, v2, v1
	v_lshrrev_b32_e32 v1, s9, v1
	s_addc_u32 s7, s7, 0
	v_mul_lo_u32 v3, v1, s10
	s_add_u32 s4, s4, 8
	v_sub_u32_e32 v3, v2, v3
	s_addc_u32 s5, s5, 0
	s_add_i32 s8, s8, -1
	v_mad_u64_u32 v[10:11], s[10:11], v3, s13, v[10:11]
	s_cmp_lg_u32 s8, 0
	v_mov_b32_e32 v2, v1
	v_mad_u64_u32 v[4:5], s[10:11], v3, s12, v[4:5]
	v_mov_b32_e32 v1, v10
	s_cbranch_scc1 .LBB19_1163
.LBB19_1164:
	s_cbranch_execnz .LBB19_1167
.LBB19_1165:
	s_load_dwordx4 s[4:7], s[34:35], 0x4
	s_load_dwordx2 s[8:9], s[34:35], 0xc4
	s_cmp_lt_u32 s33, 2
	s_waitcnt vmcnt(0) lgkmcnt(0)
	v_mul_hi_u32 v1, s5, v0
	v_add_u32_e32 v1, v0, v1
	v_lshrrev_b32_e32 v1, s6, v1
	v_mul_lo_u32 v2, v1, s4
	v_sub_u32_e32 v0, v0, v2
	v_mul_lo_u32 v10, v0, s9
	v_mul_lo_u32 v4, v0, s8
	s_cbranch_scc1 .LBB19_1167
; %bb.1166:
	s_load_dwordx4 s[4:7], s[34:35], 0x10
	s_load_dwordx2 s[8:9], s[34:35], 0xcc
	s_waitcnt lgkmcnt(0)
	v_mul_hi_u32 v0, s5, v1
	v_add_u32_e32 v0, v1, v0
	v_lshrrev_b32_e32 v0, s6, v0
	v_mul_lo_u32 v0, v0, s4
	v_sub_u32_e32 v0, v1, v0
	v_mad_u64_u32 v[4:5], s[4:5], v0, s8, v[4:5]
	v_mad_u64_u32 v[10:11], s[4:5], v0, s9, v[10:11]
.LBB19_1167:
	s_and_b64 vcc, exec, s[2:3]
	v_add_u32_e32 v0, 0x100, v12
	s_cbranch_vccnz .LBB19_1173
; %bb.1168:
	s_cmp_lg_u32 s33, 0
	s_mov_b32 s36, 0
	s_cbranch_scc0 .LBB19_1174
; %bb.1169:
	s_min_u32 s37, s72, 15
	s_add_i32 s37, s37, 1
	s_cmp_eq_u32 s72, 2
	s_cbranch_scc1 .LBB19_1175
; %bb.1170:
	s_and_b32 s36, s37, 28
	s_add_u32 s28, s34, 0xc4
	s_addc_u32 s29, s35, 0
	s_mov_b32 s38, 0
	v_mov_b32_e32 v2, 0
	v_mov_b32_e32 v12, 0
	s_mov_b64 s[30:31], s[34:35]
	v_mov_b32_e32 v5, v0
.LBB19_1171:                            ; =>This Inner Loop Header: Depth=1
	s_load_dwordx8 s[12:19], s[30:31], 0x4
	s_load_dwordx4 s[20:23], s[30:31], 0x24
	s_load_dwordx8 s[4:11], s[28:29], 0x0
	s_add_u32 s30, s30, 48
	s_addc_u32 s31, s31, 0
	s_waitcnt vmcnt(0) lgkmcnt(0)
	v_mul_hi_u32 v1, s13, v5
	v_add_u32_e32 v1, v5, v1
	v_lshrrev_b32_e32 v1, s14, v1
	v_mul_lo_u32 v3, v1, s12
	v_mul_hi_u32 v7, s16, v1
	v_sub_u32_e32 v3, v5, v3
	v_add_u32_e32 v5, v1, v7
	v_lshrrev_b32_e32 v5, s17, v5
	v_mul_lo_u32 v9, v5, s15
	v_mul_hi_u32 v11, s19, v5
	v_sub_u32_e32 v1, v1, v9
	v_add_u32_e32 v9, v5, v11
	v_mul_lo_u32 v7, v3, s5
	v_mul_lo_u32 v3, v3, s4
	;; [unrolled: 1-line block ×4, first 2 shown]
	v_lshrrev_b32_e32 v9, s20, v9
	v_add3_u32 v1, v3, v2, v1
	v_add3_u32 v2, v7, v12, v11
	v_mul_lo_u32 v3, v9, s18
	v_mul_hi_u32 v7, s22, v9
	v_sub_u32_e32 v3, v5, v3
	v_add_u32_e32 v5, v9, v7
	v_lshrrev_b32_e32 v5, s23, v5
	s_add_i32 s38, s38, 4
	v_mul_lo_u32 v11, v5, s21
	s_add_u32 s28, s28, 32
	v_sub_u32_e32 v9, v9, v11
	s_addc_u32 s29, s29, 0
	v_mul_lo_u32 v7, v3, s8
	v_mul_lo_u32 v3, v3, s9
	;; [unrolled: 1-line block ×4, first 2 shown]
	s_cmp_lg_u32 s36, s38
	v_add3_u32 v12, v3, v2, v9
	v_add3_u32 v2, v7, v1, v11
	s_cbranch_scc1 .LBB19_1171
; %bb.1172:
	v_mov_b32_e32 v1, v12
	s_and_b32 s8, s37, 3
	s_cmp_eq_u32 s8, 0
	s_cbranch_scc0 .LBB19_1176
	s_branch .LBB19_1178
.LBB19_1173:
                                        ; implicit-def: $vgpr12
                                        ; implicit-def: $vgpr2
	s_branch .LBB19_1179
.LBB19_1174:
	v_mov_b32_e32 v12, 0
	v_mov_b32_e32 v2, 0
	s_branch .LBB19_1178
.LBB19_1175:
	v_mov_b32_e32 v2, 0
                                        ; implicit-def: $vgpr12
	s_waitcnt vmcnt(0)
	v_mov_b32_e32 v1, v2
	v_mov_b32_e32 v5, v0
	s_and_b32 s8, s37, 3
	s_cmp_eq_u32 s8, 0
	s_cbranch_scc1 .LBB19_1178
.LBB19_1176:
	s_lshl_b32 s4, s36, 3
	s_add_u32 s4, s34, s4
	s_addc_u32 s5, s35, 0
	s_add_u32 s4, s4, 0xc4
	s_addc_u32 s5, s5, 0
	s_mul_i32 s6, s36, 12
	s_add_u32 s6, s34, s6
	s_addc_u32 s7, s35, 0
.LBB19_1177:                            ; =>This Inner Loop Header: Depth=1
	s_load_dwordx2 s[10:11], s[6:7], 0x4
	s_load_dword s9, s[6:7], 0xc
	s_load_dwordx2 s[12:13], s[4:5], 0x0
	v_mov_b32_e32 v12, v1
	s_add_u32 s6, s6, 12
	s_waitcnt lgkmcnt(0)
	v_mul_hi_u32 v1, s11, v5
	v_add_u32_e32 v1, v5, v1
	v_lshrrev_b32_e32 v1, s9, v1
	s_addc_u32 s7, s7, 0
	v_mul_lo_u32 v3, v1, s10
	s_add_u32 s4, s4, 8
	v_sub_u32_e32 v3, v5, v3
	s_addc_u32 s5, s5, 0
	s_add_i32 s8, s8, -1
	v_mad_u64_u32 v[12:13], s[10:11], v3, s13, v[12:13]
	s_cmp_lg_u32 s8, 0
	v_mov_b32_e32 v5, v1
	v_mad_u64_u32 v[2:3], s[10:11], v3, s12, v[2:3]
	v_mov_b32_e32 v1, v12
	s_cbranch_scc1 .LBB19_1177
.LBB19_1178:
	s_cbranch_execnz .LBB19_1181
.LBB19_1179:
	s_load_dwordx4 s[4:7], s[34:35], 0x4
	s_load_dwordx2 s[8:9], s[34:35], 0xc4
	s_cmp_lt_u32 s33, 2
	s_waitcnt vmcnt(0) lgkmcnt(0)
	v_mul_hi_u32 v1, s5, v0
	v_add_u32_e32 v1, v0, v1
	v_lshrrev_b32_e32 v1, s6, v1
	v_mul_lo_u32 v2, v1, s4
	v_sub_u32_e32 v0, v0, v2
	v_mul_lo_u32 v12, v0, s9
	v_mul_lo_u32 v2, v0, s8
	s_cbranch_scc1 .LBB19_1181
; %bb.1180:
	s_load_dwordx4 s[4:7], s[34:35], 0x10
	s_load_dwordx2 s[8:9], s[34:35], 0xcc
	s_waitcnt lgkmcnt(0)
	v_mul_hi_u32 v0, s5, v1
	v_add_u32_e32 v0, v1, v0
	v_lshrrev_b32_e32 v0, s6, v0
	v_mul_lo_u32 v0, v0, s4
	v_sub_u32_e32 v0, v1, v0
	v_mad_u64_u32 v[2:3], s[4:5], v0, s8, v[2:3]
	v_mad_u64_u32 v[12:13], s[4:5], v0, s9, v[12:13]
.LBB19_1181:
	s_and_b64 vcc, exec, s[2:3]
	s_cbranch_vccnz .LBB19_1187
; %bb.1182:
	s_cmp_lg_u32 s33, 0
	s_mov_b32 s30, 0
	s_cbranch_scc0 .LBB19_1188
; %bb.1183:
	s_min_u32 s31, s72, 15
	s_add_i32 s31, s31, 1
	s_cmp_eq_u32 s72, 2
	s_cbranch_scc1 .LBB19_1189
; %bb.1184:
	s_and_b32 s30, s31, 28
	s_add_u32 s2, s34, 0xc4
	s_addc_u32 s3, s35, 0
	s_mov_b32 s36, 0
	v_mov_b32_e32 v0, 0
	v_mov_b32_e32 v14, 0
	s_mov_b64 s[28:29], s[34:35]
	v_mov_b32_e32 v3, v16
.LBB19_1185:                            ; =>This Inner Loop Header: Depth=1
	s_load_dwordx8 s[12:19], s[28:29], 0x4
	s_load_dwordx4 s[20:23], s[28:29], 0x24
	s_load_dwordx8 s[4:11], s[2:3], 0x0
	s_add_u32 s28, s28, 48
	s_addc_u32 s29, s29, 0
	s_waitcnt vmcnt(0) lgkmcnt(0)
	v_mul_hi_u32 v1, s13, v3
	v_add_u32_e32 v1, v3, v1
	v_lshrrev_b32_e32 v1, s14, v1
	v_mul_lo_u32 v5, v1, s12
	v_mul_hi_u32 v7, s16, v1
	v_sub_u32_e32 v3, v3, v5
	v_add_u32_e32 v5, v1, v7
	v_lshrrev_b32_e32 v5, s17, v5
	v_mul_lo_u32 v9, v5, s15
	v_mul_hi_u32 v11, s19, v5
	v_sub_u32_e32 v1, v1, v9
	v_add_u32_e32 v9, v5, v11
	v_mul_lo_u32 v7, v3, s5
	v_mul_lo_u32 v3, v3, s4
	;; [unrolled: 1-line block ×4, first 2 shown]
	v_lshrrev_b32_e32 v9, s20, v9
	v_add3_u32 v0, v3, v0, v1
	v_add3_u32 v1, v7, v14, v11
	v_mul_lo_u32 v3, v9, s18
	v_mul_hi_u32 v7, s22, v9
	v_sub_u32_e32 v3, v5, v3
	v_add_u32_e32 v5, v9, v7
	v_mul_lo_u32 v7, v3, s8
	v_mul_lo_u32 v11, v3, s9
	v_lshrrev_b32_e32 v3, s23, v5
	s_add_i32 s36, s36, 4
	v_mul_lo_u32 v5, v3, s21
	s_add_u32 s2, s2, 32
	v_sub_u32_e32 v5, v9, v5
	s_addc_u32 s3, s3, 0
	v_mul_lo_u32 v9, v5, s10
	v_mul_lo_u32 v5, v5, s11
	s_cmp_lg_u32 s30, s36
	v_add3_u32 v14, v11, v1, v5
	v_add3_u32 v0, v7, v0, v9
	s_cbranch_scc1 .LBB19_1185
; %bb.1186:
	v_mov_b32_e32 v1, v14
	s_and_b32 s6, s31, 3
	s_cmp_eq_u32 s6, 0
	s_cbranch_scc0 .LBB19_1190
	s_branch .LBB19_1192
.LBB19_1187:
                                        ; implicit-def: $vgpr14
                                        ; implicit-def: $vgpr0
	s_branch .LBB19_1193
.LBB19_1188:
	v_mov_b32_e32 v14, 0
	v_mov_b32_e32 v0, 0
	s_branch .LBB19_1192
.LBB19_1189:
	v_mov_b32_e32 v0, 0
                                        ; implicit-def: $vgpr14
	s_waitcnt vmcnt(0)
	v_mov_b32_e32 v1, v0
	v_mov_b32_e32 v3, v16
	s_and_b32 s6, s31, 3
	s_cmp_eq_u32 s6, 0
	s_cbranch_scc1 .LBB19_1192
.LBB19_1190:
	s_lshl_b32 s2, s30, 3
	s_add_u32 s2, s34, s2
	s_addc_u32 s3, s35, 0
	s_add_u32 s2, s2, 0xc4
	s_addc_u32 s3, s3, 0
	s_mul_i32 s4, s30, 12
	s_add_u32 s4, s34, s4
	s_addc_u32 s5, s35, 0
.LBB19_1191:                            ; =>This Inner Loop Header: Depth=1
	s_load_dwordx2 s[8:9], s[4:5], 0x4
	s_load_dword s7, s[4:5], 0xc
	s_load_dwordx2 s[10:11], s[2:3], 0x0
	v_mov_b32_e32 v14, v1
	s_add_u32 s4, s4, 12
	s_waitcnt lgkmcnt(0)
	v_mul_hi_u32 v1, s9, v3
	v_add_u32_e32 v1, v3, v1
	v_lshrrev_b32_e32 v1, s7, v1
	s_addc_u32 s5, s5, 0
	v_mul_lo_u32 v5, v1, s8
	s_add_u32 s2, s2, 8
	v_sub_u32_e32 v5, v3, v5
	s_addc_u32 s3, s3, 0
	s_add_i32 s6, s6, -1
	v_mov_b32_e32 v3, v1
	v_mad_u64_u32 v[14:15], s[8:9], v5, s11, v[14:15]
	v_mad_u64_u32 v[0:1], s[8:9], v5, s10, v[0:1]
	s_cmp_lg_u32 s6, 0
	v_mov_b32_e32 v1, v14
	s_cbranch_scc1 .LBB19_1191
.LBB19_1192:
	s_cbranch_execnz .LBB19_1195
.LBB19_1193:
	s_load_dwordx4 s[4:7], s[34:35], 0x4
	s_load_dwordx2 s[2:3], s[34:35], 0xc4
	s_cmp_lt_u32 s33, 2
	s_waitcnt lgkmcnt(0)
	v_mul_hi_u32 v0, s5, v16
	v_add_u32_e32 v0, v16, v0
	s_waitcnt vmcnt(0)
	v_lshrrev_b32_e32 v1, s6, v0
	v_mul_lo_u32 v0, v1, s4
	v_sub_u32_e32 v0, v16, v0
	v_mul_lo_u32 v14, v0, s3
	v_mul_lo_u32 v0, v0, s2
	s_cbranch_scc1 .LBB19_1195
; %bb.1194:
	s_load_dwordx4 s[4:7], s[34:35], 0x10
	s_load_dwordx2 s[2:3], s[34:35], 0xcc
	s_waitcnt lgkmcnt(0)
	v_mul_hi_u32 v3, s5, v1
	v_add_u32_e32 v3, v1, v3
	v_lshrrev_b32_e32 v3, s6, v3
	v_mul_lo_u32 v3, v3, s4
	v_sub_u32_e32 v3, v1, v3
	v_mad_u64_u32 v[0:1], s[4:5], v3, s2, v[0:1]
	v_mad_u64_u32 v[14:15], s[2:3], v3, s3, v[14:15]
.LBB19_1195:
	s_load_dword s16, s[0:1], 0x160
	s_load_dwordx4 s[4:7], s[34:35], 0x148
	v_mov_b32_e32 v9, 0
	s_waitcnt lgkmcnt(0)
	s_bfe_u32 s14, s16, 0x80010
	s_cmp_lt_i32 s14, 11
	v_lshl_add_u64 v[8:9], s[6:7], 0, v[8:9]
	s_cbranch_scc1 .LBB19_1202
; %bb.1196:
	s_and_b32 s15, 0xffff, s14
	s_cmp_gt_i32 s15, 25
	s_mov_b64 s[8:9], 0
	s_cbranch_scc0 .LBB19_1204
; %bb.1197:
	s_cmp_gt_i32 s15, 28
	s_cbranch_scc0 .LBB19_1205
; %bb.1198:
	s_cmp_gt_i32 s15, 43
	;; [unrolled: 3-line block ×3, first 2 shown]
	s_cbranch_scc0 .LBB19_1207
; %bb.1200:
	s_cmp_eq_u32 s15, 46
	s_mov_b64 s[2:3], 0
	s_cbranch_scc0 .LBB19_1210
; %bb.1201:
	global_load_dword v1, v[8:9], off
	s_mov_b64 s[0:1], 0
	s_mov_b64 s[10:11], -1
	s_waitcnt vmcnt(0)
	v_lshlrev_b32_e32 v1, 16, v1
	s_branch .LBB19_1211
.LBB19_1202:
	s_mov_b64 s[10:11], 0
                                        ; implicit-def: $vgpr1
	s_mov_b64 s[2:3], s[24:25]
	s_cbranch_execnz .LBB19_1274
.LBB19_1203:
	s_andn2_b64 vcc, exec, s[10:11]
	s_cbranch_vccz .LBB19_1319
	s_branch .LBB19_1833
.LBB19_1204:
	s_mov_b64 s[10:11], 0
	s_mov_b64 s[0:1], 0
                                        ; implicit-def: $vgpr1
	s_cbranch_execnz .LBB19_1239
	s_branch .LBB19_1270
.LBB19_1205:
	s_mov_b64 s[2:3], -1
	s_mov_b64 s[10:11], 0
	s_mov_b64 s[0:1], 0
                                        ; implicit-def: $vgpr1
	s_branch .LBB19_1220
.LBB19_1206:
	s_mov_b64 s[10:11], 0
	s_mov_b64 s[0:1], 0
                                        ; implicit-def: $vgpr1
	s_cbranch_execnz .LBB19_1216
	s_branch .LBB19_1219
.LBB19_1207:
	s_mov_b64 s[2:3], -1
	s_mov_b64 s[10:11], 0
	s_mov_b64 s[0:1], 0
                                        ; implicit-def: $vgpr1
	s_branch .LBB19_1211
.LBB19_1208:
	s_andn2_saveexec_b64 s[12:13], s[12:13]
	s_cbranch_execz .LBB19_1051
.LBB19_1209:
	s_mov_b32 s14, 0x46000000
	v_add_f32_e64 v0, |v2|, s14
	v_and_b32_e32 v0, 0xff, v0
	v_cmp_ne_u32_e32 vcc, 0, v0
	s_andn2_b64 s[10:11], s[10:11], exec
	s_and_b64 s[14:15], vcc, exec
	s_or_b64 s[10:11], s[10:11], s[14:15]
	s_or_b64 exec, exec, s[12:13]
	v_mov_b32_e32 v1, 0
	s_and_saveexec_b64 s[12:13], s[10:11]
	s_cbranch_execnz .LBB19_1052
	s_branch .LBB19_1053
.LBB19_1210:
	s_mov_b64 s[0:1], -1
                                        ; implicit-def: $vgpr1
	s_mov_b64 s[10:11], 0
.LBB19_1211:
	s_and_b64 vcc, exec, s[2:3]
	s_cbranch_vccz .LBB19_1214
; %bb.1212:
	s_cmp_eq_u32 s15, 44
	s_cbranch_scc0 .LBB19_1215
; %bb.1213:
	global_load_ubyte v1, v[8:9], off
	s_movk_i32 s2, 0xff
	v_mov_b32_e32 v3, 0x7f800001
	v_mov_b32_e32 v5, 0x400000
	s_mov_b64 s[0:1], 0
	s_mov_b64 s[10:11], -1
	s_waitcnt vmcnt(0)
	v_lshlrev_b32_e32 v7, 23, v1
	v_cmp_ne_u32_e32 vcc, s2, v1
	s_nop 1
	v_cndmask_b32_e32 v3, v3, v7, vcc
	v_cmp_ne_u32_e32 vcc, 0, v1
	s_nop 1
	v_cndmask_b32_e32 v1, v5, v3, vcc
.LBB19_1214:
	s_branch .LBB19_1219
.LBB19_1215:
	s_mov_b64 s[0:1], -1
                                        ; implicit-def: $vgpr1
	s_branch .LBB19_1219
.LBB19_1216:
	s_cmp_eq_u32 s15, 29
	s_cbranch_scc0 .LBB19_1218
; %bb.1217:
	global_load_dwordx2 v[16:17], v[8:9], off
	s_mov_b64 s[0:1], 0
	s_mov_b64 s[10:11], -1
	s_mov_b64 s[2:3], 0
	s_waitcnt vmcnt(0)
	v_ffbh_u32_e32 v1, v17
	v_min_u32_e32 v1, 32, v1
	v_lshlrev_b64 v[16:17], v1, v[16:17]
	v_min_u32_e32 v3, 1, v16
	v_or_b32_e32 v3, v17, v3
	v_cvt_f32_u32_e32 v3, v3
	v_sub_u32_e32 v1, 32, v1
	v_ldexp_f32 v1, v3, v1
	s_branch .LBB19_1220
.LBB19_1218:
	s_mov_b64 s[0:1], -1
                                        ; implicit-def: $vgpr1
.LBB19_1219:
	s_mov_b64 s[2:3], 0
.LBB19_1220:
	s_and_b64 vcc, exec, s[2:3]
	s_cbranch_vccz .LBB19_1238
; %bb.1221:
	s_cmp_lt_i32 s15, 27
	s_cbranch_scc1 .LBB19_1224
; %bb.1222:
	s_cmp_gt_i32 s15, 27
	s_cbranch_scc0 .LBB19_1225
; %bb.1223:
	global_load_dword v1, v[8:9], off
	s_mov_b64 s[2:3], 0
	s_waitcnt vmcnt(0)
	v_cvt_f32_u32_e32 v1, v1
	s_branch .LBB19_1226
.LBB19_1224:
	s_mov_b64 s[2:3], -1
                                        ; implicit-def: $vgpr1
	s_branch .LBB19_1229
.LBB19_1225:
	s_mov_b64 s[2:3], -1
                                        ; implicit-def: $vgpr1
.LBB19_1226:
	s_andn2_b64 vcc, exec, s[2:3]
	s_cbranch_vccnz .LBB19_1228
; %bb.1227:
	global_load_ushort v1, v[8:9], off
	s_waitcnt vmcnt(0)
	v_cvt_f32_u32_e32 v1, v1
.LBB19_1228:
	s_mov_b64 s[2:3], 0
.LBB19_1229:
	s_andn2_b64 vcc, exec, s[2:3]
	s_cbranch_vccnz .LBB19_1237
; %bb.1230:
	global_load_ubyte v3, v[8:9], off
	s_movk_i32 s2, 0x7f
	s_waitcnt vmcnt(0)
	v_cmp_lt_i16_e32 vcc, s2, v3
	s_mov_b64 s[2:3], 0
	s_and_saveexec_b64 s[10:11], vcc
	s_xor_b64 s[10:11], exec, s[10:11]
	s_cbranch_execz .LBB19_1250
; %bb.1231:
	s_movk_i32 s2, 0x80
	v_cmp_eq_u16_e32 vcc, s2, v3
	s_mov_b64 s[2:3], -1
	s_and_saveexec_b64 s[12:13], vcc
; %bb.1232:
	s_xor_b64 s[2:3], exec, -1
; %bb.1233:
	s_or_b64 exec, exec, s[12:13]
	s_and_b64 s[2:3], s[2:3], exec
	s_or_saveexec_b64 s[10:11], s[10:11]
	v_mov_b32_e32 v1, 0x7f800001
	s_xor_b64 exec, exec, s[10:11]
	s_cbranch_execnz .LBB19_1251
.LBB19_1234:
	s_or_b64 exec, exec, s[10:11]
	s_and_saveexec_b64 s[10:11], s[2:3]
	s_cbranch_execz .LBB19_1236
.LBB19_1235:
	v_lshlrev_b32_e32 v1, 24, v3
	v_and_b32_e32 v3, 0xffff, v3
	v_and_b32_e32 v5, 7, v3
	v_ffbh_u32_e32 v11, v5
	v_min_u32_e32 v11, 32, v11
	v_subrev_u32_e32 v13, 28, v11
	v_bfe_u32 v7, v3, 3, 4
	v_lshlrev_b32_e32 v3, v13, v3
	v_sub_u32_e32 v11, 29, v11
	v_and_b32_e32 v3, 7, v3
	v_cmp_eq_u32_e32 vcc, 0, v7
	v_and_b32_e32 v1, 0x80000000, v1
	s_nop 0
	v_cndmask_b32_e32 v7, v7, v11, vcc
	v_cndmask_b32_e32 v3, v5, v3, vcc
	v_mov_b32_e32 v5, 0x3b800000
	v_lshlrev_b32_e32 v3, 20, v3
	v_lshl_add_u32 v5, v7, 23, v5
	v_or3_b32 v1, v1, v5, v3
.LBB19_1236:
	s_or_b64 exec, exec, s[10:11]
.LBB19_1237:
	s_mov_b64 s[10:11], -1
.LBB19_1238:
	s_branch .LBB19_1270
.LBB19_1239:
	s_cmp_gt_i32 s15, 22
	s_cbranch_scc0 .LBB19_1249
; %bb.1240:
	s_cmp_lt_i32 s15, 24
	s_cbranch_scc1 .LBB19_1252
; %bb.1241:
	s_cmp_gt_i32 s15, 24
	s_cbranch_scc0 .LBB19_1253
; %bb.1242:
	global_load_ubyte v3, v[8:9], off
	s_movk_i32 s2, 0x7f
	s_waitcnt vmcnt(0)
	v_cmp_lt_i16_e32 vcc, s2, v3
	s_mov_b64 s[2:3], 0
	s_and_saveexec_b64 s[8:9], vcc
	s_xor_b64 s[8:9], exec, s[8:9]
	s_cbranch_execz .LBB19_1264
; %bb.1243:
	s_movk_i32 s2, 0x80
	v_cmp_eq_u16_e32 vcc, s2, v3
	s_mov_b64 s[2:3], -1
	s_and_saveexec_b64 s[10:11], vcc
; %bb.1244:
	s_xor_b64 s[2:3], exec, -1
; %bb.1245:
	s_or_b64 exec, exec, s[10:11]
	s_and_b64 s[2:3], s[2:3], exec
	s_or_saveexec_b64 s[8:9], s[8:9]
	v_mov_b32_e32 v1, 0x7f800001
	s_xor_b64 exec, exec, s[8:9]
	s_cbranch_execnz .LBB19_1265
.LBB19_1246:
	s_or_b64 exec, exec, s[8:9]
	s_and_saveexec_b64 s[8:9], s[2:3]
	s_cbranch_execz .LBB19_1248
.LBB19_1247:
	v_lshlrev_b32_e32 v1, 24, v3
	v_and_b32_e32 v3, 0xffff, v3
	v_and_b32_e32 v5, 3, v3
	v_ffbh_u32_e32 v11, v5
	v_min_u32_e32 v11, 32, v11
	v_subrev_u32_e32 v13, 29, v11
	v_bfe_u32 v7, v3, 2, 5
	v_lshlrev_b32_e32 v3, v13, v3
	v_sub_u32_e32 v11, 30, v11
	v_and_b32_e32 v3, 3, v3
	v_cmp_eq_u32_e32 vcc, 0, v7
	v_and_b32_e32 v1, 0x80000000, v1
	s_nop 0
	v_cndmask_b32_e32 v7, v7, v11, vcc
	v_cndmask_b32_e32 v3, v5, v3, vcc
	v_mov_b32_e32 v5, 0x37800000
	v_lshlrev_b32_e32 v3, 21, v3
	v_lshl_add_u32 v5, v7, 23, v5
	v_or3_b32 v1, v1, v5, v3
.LBB19_1248:
	s_or_b64 exec, exec, s[8:9]
	s_mov_b64 s[2:3], 0
	s_branch .LBB19_1254
.LBB19_1249:
                                        ; implicit-def: $vgpr1
	s_mov_b64 s[8:9], 0
	s_branch .LBB19_1260
.LBB19_1250:
	s_or_saveexec_b64 s[10:11], s[10:11]
	v_mov_b32_e32 v1, 0x7f800001
	s_xor_b64 exec, exec, s[10:11]
	s_cbranch_execz .LBB19_1234
.LBB19_1251:
	v_cmp_ne_u16_e32 vcc, 0, v3
	s_andn2_b64 s[2:3], s[2:3], exec
	s_and_b64 s[12:13], vcc, exec
	v_mov_b32_e32 v1, 0
	s_or_b64 s[2:3], s[2:3], s[12:13]
	s_or_b64 exec, exec, s[10:11]
	s_and_saveexec_b64 s[10:11], s[2:3]
	s_cbranch_execnz .LBB19_1235
	s_branch .LBB19_1236
.LBB19_1252:
	s_mov_b64 s[2:3], -1
                                        ; implicit-def: $vgpr1
	s_branch .LBB19_1257
.LBB19_1253:
	s_mov_b64 s[2:3], -1
                                        ; implicit-def: $vgpr1
.LBB19_1254:
	s_and_b64 vcc, exec, s[2:3]
	s_cbranch_vccz .LBB19_1256
; %bb.1255:
	global_load_ubyte v1, v[8:9], off
	s_mov_b32 s2, 0x7f800000
	s_waitcnt vmcnt(0)
	v_lshlrev_b32_e32 v1, 24, v1
	v_and_b32_e32 v3, 0x7f000000, v1
	v_ffbh_u32_e32 v5, v3
	v_min_u32_e32 v5, 32, v5
	v_sub_u32_e64 v5, v5, 4 clamp
	v_lshlrev_b32_e32 v11, v5, v3
	v_lshlrev_b32_e32 v5, 23, v5
	v_lshrrev_b32_e32 v11, 4, v11
	v_add_u32_e32 v7, 0x1000000, v3
	v_sub_u32_e32 v5, v11, v5
	v_ashrrev_i32_e32 v7, 8, v7
	v_add_u32_e32 v5, 0x3c000000, v5
	v_and_or_b32 v5, v7, s2, v5
	v_cmp_ne_u32_e32 vcc, 0, v3
	s_brev_b32 s2, 1
	s_nop 0
	v_cndmask_b32_e32 v3, 0, v5, vcc
	v_and_or_b32 v1, v1, s2, v3
.LBB19_1256:
	s_mov_b64 s[2:3], 0
.LBB19_1257:
	s_andn2_b64 vcc, exec, s[2:3]
	s_cbranch_vccnz .LBB19_1259
; %bb.1258:
	global_load_ubyte v1, v[8:9], off
	s_movk_i32 s2, 0x7f00
	s_brev_b32 s3, 16
	s_waitcnt vmcnt(0)
	v_lshlrev_b16_e32 v3, 8, v1
	v_lshlrev_b32_e32 v1, 25, v1
	v_lshrrev_b32_e32 v5, 4, v1
	v_and_or_b32 v7, v3, s2, 0.5
	v_or_b32_e32 v5, 0x70000000, v5
	v_add_f32_e32 v7, -0.5, v7
	v_mul_f32_e32 v5, 0x7800000, v5
	v_cmp_gt_u32_e32 vcc, s3, v1
	v_bfe_i32 v3, v3, 0, 16
	s_brev_b32 s2, 1
	v_cndmask_b32_e32 v1, v5, v7, vcc
	v_and_or_b32 v1, v3, s2, v1
.LBB19_1259:
	s_mov_b64 s[10:11], -1
	s_mov_b64 s[8:9], 0
	s_cbranch_execnz .LBB19_1270
.LBB19_1260:
	s_cmp_gt_i32 s15, 14
	s_cbranch_scc0 .LBB19_1263
; %bb.1261:
	s_cmp_eq_u32 s15, 15
	s_cbranch_scc0 .LBB19_1266
; %bb.1262:
	global_load_ushort v1, v[8:9], off
	s_mov_b64 s[0:1], 0
	s_mov_b64 s[10:11], -1
	s_waitcnt vmcnt(0)
	v_lshlrev_b32_e32 v1, 16, v1
	s_branch .LBB19_1267
.LBB19_1263:
	s_mov_b64 s[2:3], -1
                                        ; implicit-def: $vgpr1
	s_branch .LBB19_1268
.LBB19_1264:
	s_or_saveexec_b64 s[8:9], s[8:9]
	v_mov_b32_e32 v1, 0x7f800001
	s_xor_b64 exec, exec, s[8:9]
	s_cbranch_execz .LBB19_1246
.LBB19_1265:
	v_cmp_ne_u16_e32 vcc, 0, v3
	s_andn2_b64 s[2:3], s[2:3], exec
	s_and_b64 s[10:11], vcc, exec
	v_mov_b32_e32 v1, 0
	s_or_b64 s[2:3], s[2:3], s[10:11]
	s_or_b64 exec, exec, s[8:9]
	s_and_saveexec_b64 s[8:9], s[2:3]
	s_cbranch_execnz .LBB19_1247
	s_branch .LBB19_1248
.LBB19_1266:
	s_mov_b64 s[0:1], -1
                                        ; implicit-def: $vgpr1
.LBB19_1267:
	s_mov_b64 s[2:3], 0
.LBB19_1268:
	s_and_b64 vcc, exec, s[2:3]
	s_cbranch_vccz .LBB19_1270
; %bb.1269:
	s_cmp_lg_u32 s15, 11
	s_mov_b64 s[8:9], -1
	s_cselect_b64 s[0:1], -1, 0
.LBB19_1270:
	s_and_b64 vcc, exec, s[0:1]
	s_mov_b64 s[2:3], s[24:25]
	s_cbranch_vccnz .LBB19_1343
; %bb.1271:
	s_andn2_b64 vcc, exec, s[8:9]
	s_cbranch_vccnz .LBB19_1273
.LBB19_1272:
	global_load_ubyte v1, v[8:9], off
	s_mov_b64 s[10:11], -1
	s_waitcnt vmcnt(0)
	v_cmp_ne_u16_e32 vcc, 0, v1
	s_nop 1
	v_cndmask_b32_e64 v1, 0, 1.0, vcc
.LBB19_1273:
	s_branch .LBB19_1203
.LBB19_1274:
	s_and_b32 s8, 0xffff, s14
	s_cmp_lt_i32 s8, 5
	s_cbranch_scc1 .LBB19_1279
; %bb.1275:
	s_cmp_lt_i32 s8, 8
	s_cbranch_scc1 .LBB19_1280
; %bb.1276:
	;; [unrolled: 3-line block ×3, first 2 shown]
	s_cmp_gt_i32 s8, 9
	s_cbranch_scc0 .LBB19_1282
; %bb.1278:
	global_load_dwordx2 v[16:17], v[8:9], off
	s_mov_b64 s[0:1], 0
	s_waitcnt vmcnt(0)
	v_cvt_f32_f64_e32 v1, v[16:17]
	s_branch .LBB19_1283
.LBB19_1279:
                                        ; implicit-def: $vgpr1
	s_branch .LBB19_1300
.LBB19_1280:
                                        ; implicit-def: $vgpr1
	s_branch .LBB19_1289
.LBB19_1281:
	s_mov_b64 s[0:1], -1
                                        ; implicit-def: $vgpr1
	s_branch .LBB19_1286
.LBB19_1282:
	s_mov_b64 s[0:1], -1
                                        ; implicit-def: $vgpr1
.LBB19_1283:
	s_andn2_b64 vcc, exec, s[0:1]
	s_cbranch_vccnz .LBB19_1285
; %bb.1284:
	global_load_dword v1, v[8:9], off
.LBB19_1285:
	s_mov_b64 s[0:1], 0
.LBB19_1286:
	s_andn2_b64 vcc, exec, s[0:1]
	s_cbranch_vccnz .LBB19_1288
; %bb.1287:
	global_load_dword v1, v[8:9], off
	s_waitcnt vmcnt(0)
	v_cvt_f32_f16_e32 v1, v1
.LBB19_1288:
	s_cbranch_execnz .LBB19_1299
.LBB19_1289:
	s_cmp_lt_i32 s8, 6
	s_cbranch_scc1 .LBB19_1292
; %bb.1290:
	s_cmp_gt_i32 s8, 6
	s_cbranch_scc0 .LBB19_1293
; %bb.1291:
	global_load_dwordx2 v[16:17], v[8:9], off
	s_mov_b64 s[0:1], 0
	s_waitcnt vmcnt(0)
	v_cvt_f32_f64_e32 v1, v[16:17]
	s_branch .LBB19_1294
.LBB19_1292:
	s_mov_b64 s[0:1], -1
                                        ; implicit-def: $vgpr1
	s_branch .LBB19_1297
.LBB19_1293:
	s_mov_b64 s[0:1], -1
                                        ; implicit-def: $vgpr1
.LBB19_1294:
	s_andn2_b64 vcc, exec, s[0:1]
	s_cbranch_vccnz .LBB19_1296
; %bb.1295:
	global_load_dword v1, v[8:9], off
.LBB19_1296:
	s_mov_b64 s[0:1], 0
.LBB19_1297:
	s_andn2_b64 vcc, exec, s[0:1]
	s_cbranch_vccnz .LBB19_1299
; %bb.1298:
	global_load_ushort v1, v[8:9], off
	s_waitcnt vmcnt(0)
	v_cvt_f32_f16_e32 v1, v1
.LBB19_1299:
	s_cbranch_execnz .LBB19_1318
.LBB19_1300:
	s_cmp_lt_i32 s8, 2
	s_cbranch_scc1 .LBB19_1304
; %bb.1301:
	s_cmp_lt_i32 s8, 3
	s_cbranch_scc1 .LBB19_1305
; %bb.1302:
	s_cmp_gt_i32 s8, 3
	s_cbranch_scc0 .LBB19_1306
; %bb.1303:
	global_load_dwordx2 v[16:17], v[8:9], off
	s_mov_b64 s[0:1], 0
	s_waitcnt vmcnt(0)
	v_xor_b32_e32 v3, v16, v17
	v_ffbh_i32_e32 v1, v17
	v_ashrrev_i32_e32 v3, 31, v3
	v_add_u32_e32 v1, -1, v1
	v_add_u32_e32 v3, 32, v3
	v_min_u32_e32 v1, v1, v3
	v_lshlrev_b64 v[16:17], v1, v[16:17]
	v_min_u32_e32 v3, 1, v16
	v_or_b32_e32 v3, v17, v3
	v_cvt_f32_i32_e32 v3, v3
	v_sub_u32_e32 v1, 32, v1
	v_ldexp_f32 v1, v3, v1
	s_branch .LBB19_1307
.LBB19_1304:
                                        ; implicit-def: $vgpr1
	s_branch .LBB19_1313
.LBB19_1305:
	s_mov_b64 s[0:1], -1
                                        ; implicit-def: $vgpr1
	s_branch .LBB19_1310
.LBB19_1306:
	s_mov_b64 s[0:1], -1
                                        ; implicit-def: $vgpr1
.LBB19_1307:
	s_andn2_b64 vcc, exec, s[0:1]
	s_cbranch_vccnz .LBB19_1309
; %bb.1308:
	global_load_dword v1, v[8:9], off
	s_waitcnt vmcnt(0)
	v_cvt_f32_i32_e32 v1, v1
.LBB19_1309:
	s_mov_b64 s[0:1], 0
.LBB19_1310:
	s_andn2_b64 vcc, exec, s[0:1]
	s_cbranch_vccnz .LBB19_1312
; %bb.1311:
	global_load_sshort v1, v[8:9], off
	s_waitcnt vmcnt(0)
	v_cvt_f32_i32_e32 v1, v1
.LBB19_1312:
	s_cbranch_execnz .LBB19_1318
.LBB19_1313:
	s_cmp_gt_i32 s8, 0
	s_cbranch_scc0 .LBB19_1315
; %bb.1314:
	global_load_sbyte v1, v[8:9], off
	s_mov_b64 s[0:1], 0
	s_waitcnt vmcnt(0)
	v_cvt_f32_i32_e32 v1, v1
	s_branch .LBB19_1316
.LBB19_1315:
	s_mov_b64 s[0:1], -1
                                        ; implicit-def: $vgpr1
.LBB19_1316:
	s_andn2_b64 vcc, exec, s[0:1]
	s_cbranch_vccnz .LBB19_1318
; %bb.1317:
	global_load_ubyte v1, v[8:9], off
	s_waitcnt vmcnt(0)
	v_cvt_f32_ubyte0_e32 v1, v1
.LBB19_1318:
.LBB19_1319:
	s_mov_b32 s0, 0x41000000
	s_waitcnt vmcnt(0)
	v_cmp_le_f32_e64 s[0:1], |v1|, s0
                                        ; implicit-def: $vgpr8
	s_and_saveexec_b64 s[8:9], s[0:1]
	s_xor_b64 s[8:9], exec, s[8:9]
	s_cbranch_execz .LBB19_1325
; %bb.1320:
	v_fma_f32 v3, |v1|, 0.5, -2.0
	v_mov_b32_e32 v5, 0xa3c2be86
	v_fmac_f32_e32 v5, 0x224cf950, v3
	v_fmaak_f32 v7, v3, v5, 0xa24cf950
	v_add_f32_e32 v7, 0x25331f1f, v7
	v_fma_f32 v5, v3, v7, -v5
	v_add_f32_e32 v5, 0xa69f5554, v5
	v_fma_f32 v7, v3, v5, -v7
	;; [unrolled: 2-line block ×25, first 2 shown]
	v_add_f32_e32 v5, 0xbe34a688, v5
	s_mov_b32 s0, 0x3fb8aa3b
	v_fma_f32 v3, v3, v5, -v7
	v_mul_f32_e64 v5, |v1|, s0
	v_rndne_f32_e32 v8, v5
	v_sub_f32_e32 v9, v5, v8
	v_fma_f32 v5, |v1|, s0, -v5
	s_mov_b32 s0, 0x32a5705f
	v_fma_f32 v5, |v1|, s0, v5
	v_add_f32_e32 v5, v9, v5
	v_exp_f32_e32 v5, v5
	v_cvt_i32_f32_e32 v8, v8
	s_mov_b32 s0, 0xc2ce8ed0
	v_add_f32_e32 v3, 0x3e81531c, v3
	v_cmp_nlt_f32_e64 s[0:1], |v1|, s0
	v_ldexp_f32 v5, v5, v8
	v_sub_f32_e32 v3, v3, v7
	v_cndmask_b32_e64 v5, 0, v5, s[0:1]
	s_mov_b32 s0, 0x42b17218
	v_mul_f32_e32 v3, 0.5, v3
	v_mov_b32_e32 v7, 0x7f800000
	v_cmp_ngt_f32_e64 s[0:1], |v1|, s0
	v_cmp_ngt_f32_e32 vcc, 0, v1
	v_mul_f32_e64 v3, |v1|, v3
	v_cndmask_b32_e64 v1, v7, v5, s[0:1]
                                        ; implicit-def: $vgpr8
	s_and_saveexec_b64 s[0:1], vcc
	s_xor_b64 s[0:1], exec, s[0:1]
; %bb.1321:
	v_mul_f32_e32 v8, v1, v3
                                        ; implicit-def: $vgpr1
                                        ; implicit-def: $vgpr3
; %bb.1322:
	s_andn2_saveexec_b64 s[0:1], s[0:1]
; %bb.1323:
	v_mul_f32_e64 v8, v3, -v1
; %bb.1324:
	s_or_b64 exec, exec, s[0:1]
                                        ; implicit-def: $vgpr1
.LBB19_1325:
	s_andn2_saveexec_b64 s[8:9], s[8:9]
	s_cbranch_execz .LBB19_1331
; %bb.1326:
	v_and_b32_e32 v3, 0x7fffffff, v1
	s_mov_b32 s10, 0x42000000
	v_div_scale_f32 v5, s[0:1], v3, v3, s10
	v_rcp_f32_e32 v7, v5
	v_div_scale_f32 v3, vcc, s10, v3, s10
	s_mov_b32 s0, 0x3fb8aa3b
	v_fma_f32 v8, -v5, v7, 1.0
	v_fmac_f32_e32 v7, v8, v7
	v_mul_f32_e32 v8, v3, v7
	v_fma_f32 v9, -v5, v8, v3
	v_fmac_f32_e32 v8, v9, v7
	v_fma_f32 v3, -v5, v8, v3
	v_div_fmas_f32 v3, v3, v7, v8
	v_div_fixup_f32 v3, v3, |v1|, s10
	v_add_f32_e32 v3, -2.0, v3
	v_mov_b32_e32 v5, 0x22a2dc57
	v_fmac_f32_e32 v5, 0x230aab6e, v3
	v_fmaak_f32 v7, v3, v5, 0xa30aab6e
	v_add_f32_e32 v7, 0xa456751e, v7
	v_fma_f32 v5, v3, v7, -v5
	v_add_f32_e32 v5, 0xa4140365, v5
	v_fma_f32 v7, v3, v5, -v7
	;; [unrolled: 2-line block ×18, first 2 shown]
	v_mul_f32_e64 v8, |v1|, s0
	v_add_f32_e32 v7, 0xb486dfe9, v7
	v_rndne_f32_e32 v9, v8
	v_fma_f32 v5, v3, v7, -v5
	v_sub_f32_e32 v11, v8, v9
	v_fma_f32 v8, |v1|, s0, -v8
	s_mov_b32 s0, 0x32a5705f
	v_add_f32_e32 v5, 0xb68246fa, v5
	v_fma_f32 v8, |v1|, s0, v8
	v_fma_f32 v7, v3, v5, -v7
	v_add_f32_e32 v8, v11, v8
	v_add_f32_e32 v7, 0xb8e7ebfc, v7
	v_exp_f32_e32 v8, v8
	v_cvt_i32_f32_e32 v9, v9
	v_fma_f32 v5, v3, v7, -v5
	v_add_f32_e32 v5, 0xbc1fed03, v5
	v_fma_f32 v3, v3, v5, -v7
	s_mov_b32 s0, 0xc2ce8ed0
	v_add_f32_e32 v5, 0x3f4750c6, v3
	v_ldexp_f32 v3, v8, v9
	v_cmp_nlt_f32_e64 s[0:1], |v1|, s0
	v_mov_b32_e32 v8, 0x7f800000
	v_cmp_ngt_f32_e32 vcc, 0, v1
	v_cndmask_b32_e64 v3, 0, v3, s[0:1]
	s_mov_b32 s0, 0x42b17218
	v_cmp_ngt_f32_e64 s[0:1], |v1|, s0
	v_sub_f32_e32 v5, v5, v7
	s_nop 0
	v_cndmask_b32_e64 v3, v8, v3, s[0:1]
                                        ; implicit-def: $vgpr8
	s_and_saveexec_b64 s[0:1], vcc
	s_xor_b64 s[10:11], exec, s[0:1]
	s_cbranch_execz .LBB19_1328
; %bb.1327:
	s_mov_b32 s0, 0xf800000
	s_mov_b32 s1, 0x4f800000
	v_mul_f32_e64 v7, |v1|, s1
	v_cmp_lt_f32_e64 vcc, |v1|, s0
	v_mul_f32_e32 v5, 0.5, v5
	v_mul_f32_e32 v3, v3, v5
	v_cndmask_b32_e64 v1, |v1|, v7, vcc
	v_sqrt_f32_e32 v7, v1
	s_nop 0
	v_add_u32_e32 v5, -1, v7
	v_fma_f32 v8, -v5, v7, v1
	v_cmp_ge_f32_e64 s[0:1], 0, v8
	v_add_u32_e32 v8, 1, v7
	s_nop 0
	v_cndmask_b32_e64 v5, v7, v5, s[0:1]
	v_fma_f32 v7, -v8, v7, v1
	v_cmp_lt_f32_e64 s[0:1], 0, v7
	s_nop 1
	v_cndmask_b32_e64 v5, v5, v8, s[0:1]
	v_mul_f32_e32 v7, 0x37800000, v5
	v_cndmask_b32_e32 v5, v5, v7, vcc
	v_mov_b32_e32 v7, 0x260
	v_cmp_class_f32_e32 vcc, v1, v7
	s_nop 1
	v_cndmask_b32_e32 v1, v5, v1, vcc
	v_div_scale_f32 v5, s[0:1], v1, v1, v3
	v_rcp_f32_e32 v7, v5
	s_nop 0
	v_fma_f32 v8, -v5, v7, 1.0
	v_fmac_f32_e32 v7, v8, v7
	v_div_scale_f32 v8, vcc, v3, v1, v3
	v_mul_f32_e32 v9, v8, v7
	v_fma_f32 v11, -v5, v9, v8
	v_fmac_f32_e32 v9, v11, v7
	v_fma_f32 v5, -v5, v9, v8
	v_div_fmas_f32 v5, v5, v7, v9
	v_div_fixup_f32 v8, v5, v1, v3
                                        ; implicit-def: $vgpr1
                                        ; implicit-def: $vgpr5
                                        ; implicit-def: $vgpr3
.LBB19_1328:
	s_andn2_saveexec_b64 s[10:11], s[10:11]
	s_cbranch_execz .LBB19_1330
; %bb.1329:
	s_mov_b32 s0, 0xf800000
	s_mov_b32 s1, 0x4f800000
	v_mul_f32_e64 v7, |v1|, s1
	v_cmp_lt_f32_e64 vcc, |v1|, s0
	v_mul_f32_e32 v5, -0.5, v5
	v_mul_f32_e32 v3, v3, v5
	v_cndmask_b32_e64 v1, |v1|, v7, vcc
	v_sqrt_f32_e32 v7, v1
	s_nop 0
	v_add_u32_e32 v8, -1, v7
	v_fma_f32 v9, -v8, v7, v1
	v_cmp_ge_f32_e64 s[0:1], 0, v9
	v_add_u32_e32 v9, 1, v7
	s_nop 0
	v_cndmask_b32_e64 v8, v7, v8, s[0:1]
	v_fma_f32 v7, -v9, v7, v1
	v_cmp_lt_f32_e64 s[0:1], 0, v7
	s_nop 1
	v_cndmask_b32_e64 v7, v8, v9, s[0:1]
	v_mul_f32_e32 v8, 0x37800000, v7
	v_cndmask_b32_e32 v7, v7, v8, vcc
	v_mov_b32_e32 v8, 0x260
	v_cmp_class_f32_e32 vcc, v1, v8
	s_nop 1
	v_cndmask_b32_e32 v1, v7, v1, vcc
	v_div_scale_f32 v5, s[0:1], v1, v1, v3
	v_rcp_f32_e32 v7, v5
	s_nop 0
	v_fma_f32 v8, -v5, v7, 1.0
	v_fmac_f32_e32 v7, v8, v7
	v_div_scale_f32 v8, vcc, v3, v1, v3
	v_mul_f32_e32 v9, v8, v7
	v_fma_f32 v11, -v5, v9, v8
	v_fmac_f32_e32 v9, v11, v7
	v_fma_f32 v5, -v5, v9, v8
	v_div_fmas_f32 v5, v5, v7, v9
	v_div_fixup_f32 v8, v5, v1, v3
.LBB19_1330:
	s_or_b64 exec, exec, s[10:11]
.LBB19_1331:
	s_or_b64 exec, exec, s[8:9]
	s_lshr_b32 s0, s16, 16
	v_mov_b32_e32 v11, 0
	s_and_b32 s17, s0, 0xff
	s_cmp_lt_i32 s17, 11
	v_lshl_add_u64 v[10:11], s[6:7], 0, v[10:11]
	s_cbranch_scc1 .LBB19_1338
; %bb.1332:
	s_and_b32 s18, 0xffff, s17
	s_cmp_gt_i32 s18, 25
	s_mov_b64 s[8:9], 0
	s_cbranch_scc0 .LBB19_1340
; %bb.1333:
	s_cmp_gt_i32 s18, 28
	s_cbranch_scc0 .LBB19_1341
; %bb.1334:
	s_cmp_gt_i32 s18, 43
	;; [unrolled: 3-line block ×3, first 2 shown]
	s_cbranch_scc0 .LBB19_1344
; %bb.1336:
	s_cmp_eq_u32 s18, 46
	s_mov_b64 s[12:13], 0
	s_cbranch_scc0 .LBB19_1347
; %bb.1337:
	global_load_dword v1, v[10:11], off
	s_mov_b64 s[0:1], 0
	s_mov_b64 s[10:11], -1
	s_waitcnt vmcnt(0)
	v_lshlrev_b32_e32 v1, 16, v1
	s_branch .LBB19_1348
.LBB19_1338:
	s_mov_b64 s[10:11], 0
                                        ; implicit-def: $vgpr1
	s_cbranch_execnz .LBB19_1413
.LBB19_1339:
	s_andn2_b64 vcc, exec, s[10:11]
	s_cbranch_vccnz .LBB19_1833
	s_branch .LBB19_1460
.LBB19_1340:
	s_mov_b64 s[10:11], 0
	s_mov_b64 s[0:1], 0
                                        ; implicit-def: $vgpr1
	s_cbranch_execnz .LBB19_1377
	s_branch .LBB19_1409
.LBB19_1341:
	s_mov_b64 s[12:13], -1
	s_mov_b64 s[10:11], 0
	s_mov_b64 s[0:1], 0
                                        ; implicit-def: $vgpr1
	s_branch .LBB19_1358
.LBB19_1342:
	s_mov_b64 s[12:13], -1
	s_mov_b64 s[10:11], 0
	s_mov_b64 s[0:1], 0
                                        ; implicit-def: $vgpr1
	s_branch .LBB19_1353
.LBB19_1343:
	s_or_b64 s[2:3], s[24:25], exec
	s_trap 2
	s_cbranch_execz .LBB19_1272
	s_branch .LBB19_1273
.LBB19_1344:
	s_mov_b64 s[12:13], -1
	s_mov_b64 s[10:11], 0
	s_mov_b64 s[0:1], 0
                                        ; implicit-def: $vgpr1
	s_branch .LBB19_1348
.LBB19_1345:
	s_andn2_saveexec_b64 s[14:15], s[14:15]
	s_cbranch_execz .LBB19_1063
.LBB19_1346:
	s_mov_b32 s18, 0x42800000
	v_add_f32_e64 v0, |v2|, s18
	v_and_b32_e32 v0, 0xff, v0
	v_cmp_ne_u32_e32 vcc, 0, v0
	s_andn2_b64 s[12:13], s[12:13], exec
	s_and_b64 s[18:19], vcc, exec
	s_or_b64 s[12:13], s[12:13], s[18:19]
	s_or_b64 exec, exec, s[14:15]
	v_mov_b32_e32 v1, 0
	s_and_saveexec_b64 s[14:15], s[12:13]
	s_cbranch_execnz .LBB19_1064
	s_branch .LBB19_1065
.LBB19_1347:
	s_mov_b64 s[0:1], -1
                                        ; implicit-def: $vgpr1
	s_mov_b64 s[10:11], 0
.LBB19_1348:
	s_and_b64 vcc, exec, s[12:13]
	s_cbranch_vccz .LBB19_1352
; %bb.1349:
	s_cmp_eq_u32 s18, 44
	s_cbranch_scc0 .LBB19_1351
; %bb.1350:
	global_load_ubyte v1, v[10:11], off
	s_movk_i32 s10, 0xff
	v_mov_b32_e32 v3, 0x7f800001
	v_mov_b32_e32 v5, 0x400000
	s_mov_b64 s[0:1], 0
	s_waitcnt vmcnt(0)
	v_lshlrev_b32_e32 v7, 23, v1
	v_cmp_ne_u32_e32 vcc, s10, v1
	s_mov_b64 s[10:11], -1
	s_nop 0
	v_cndmask_b32_e32 v3, v3, v7, vcc
	v_cmp_ne_u32_e32 vcc, 0, v1
	s_nop 1
	v_cndmask_b32_e32 v1, v5, v3, vcc
	s_branch .LBB19_1352
.LBB19_1351:
	s_mov_b64 s[0:1], -1
                                        ; implicit-def: $vgpr1
.LBB19_1352:
	s_mov_b64 s[12:13], 0
.LBB19_1353:
	s_and_b64 vcc, exec, s[12:13]
	s_cbranch_vccz .LBB19_1357
; %bb.1354:
	s_cmp_eq_u32 s18, 29
	s_cbranch_scc0 .LBB19_1356
; %bb.1355:
	global_load_dwordx2 v[16:17], v[10:11], off
	s_mov_b64 s[0:1], 0
	s_mov_b64 s[10:11], -1
	s_mov_b64 s[12:13], 0
	s_waitcnt vmcnt(0)
	v_ffbh_u32_e32 v1, v17
	v_min_u32_e32 v1, 32, v1
	v_lshlrev_b64 v[16:17], v1, v[16:17]
	v_min_u32_e32 v3, 1, v16
	v_or_b32_e32 v3, v17, v3
	v_cvt_f32_u32_e32 v3, v3
	v_sub_u32_e32 v1, 32, v1
	v_ldexp_f32 v1, v3, v1
	s_branch .LBB19_1358
.LBB19_1356:
	s_mov_b64 s[0:1], -1
                                        ; implicit-def: $vgpr1
.LBB19_1357:
	s_mov_b64 s[12:13], 0
.LBB19_1358:
	s_and_b64 vcc, exec, s[12:13]
	s_cbranch_vccz .LBB19_1376
; %bb.1359:
	s_cmp_lt_i32 s18, 27
	s_cbranch_scc1 .LBB19_1362
; %bb.1360:
	s_cmp_gt_i32 s18, 27
	s_cbranch_scc0 .LBB19_1363
; %bb.1361:
	global_load_dword v1, v[10:11], off
	s_mov_b64 s[10:11], 0
	s_waitcnt vmcnt(0)
	v_cvt_f32_u32_e32 v1, v1
	s_branch .LBB19_1364
.LBB19_1362:
	s_mov_b64 s[10:11], -1
                                        ; implicit-def: $vgpr1
	s_branch .LBB19_1367
.LBB19_1363:
	s_mov_b64 s[10:11], -1
                                        ; implicit-def: $vgpr1
.LBB19_1364:
	s_andn2_b64 vcc, exec, s[10:11]
	s_cbranch_vccnz .LBB19_1366
; %bb.1365:
	global_load_ushort v1, v[10:11], off
	s_waitcnt vmcnt(0)
	v_cvt_f32_u32_e32 v1, v1
.LBB19_1366:
	s_mov_b64 s[10:11], 0
.LBB19_1367:
	s_andn2_b64 vcc, exec, s[10:11]
	s_cbranch_vccnz .LBB19_1375
; %bb.1368:
	global_load_ubyte v3, v[10:11], off
	s_movk_i32 s10, 0x7f
	s_waitcnt vmcnt(0)
	v_cmp_lt_i16_e32 vcc, s10, v3
	s_mov_b64 s[10:11], 0
	s_and_saveexec_b64 s[12:13], vcc
	s_xor_b64 s[12:13], exec, s[12:13]
	s_cbranch_execz .LBB19_1388
; %bb.1369:
	s_movk_i32 s10, 0x80
	v_cmp_eq_u16_e32 vcc, s10, v3
	s_mov_b64 s[10:11], -1
	s_and_saveexec_b64 s[14:15], vcc
; %bb.1370:
	s_xor_b64 s[10:11], exec, -1
; %bb.1371:
	s_or_b64 exec, exec, s[14:15]
	s_and_b64 s[10:11], s[10:11], exec
	s_or_saveexec_b64 s[12:13], s[12:13]
	v_mov_b32_e32 v1, 0x7f800001
	s_xor_b64 exec, exec, s[12:13]
	s_cbranch_execnz .LBB19_1389
.LBB19_1372:
	s_or_b64 exec, exec, s[12:13]
	s_and_saveexec_b64 s[12:13], s[10:11]
	s_cbranch_execz .LBB19_1374
.LBB19_1373:
	v_lshlrev_b32_e32 v1, 24, v3
	v_and_b32_e32 v3, 0xffff, v3
	v_and_b32_e32 v5, 7, v3
	v_ffbh_u32_e32 v9, v5
	v_min_u32_e32 v9, 32, v9
	v_subrev_u32_e32 v13, 28, v9
	v_bfe_u32 v7, v3, 3, 4
	v_lshlrev_b32_e32 v3, v13, v3
	v_sub_u32_e32 v9, 29, v9
	v_and_b32_e32 v3, 7, v3
	v_cmp_eq_u32_e32 vcc, 0, v7
	v_and_b32_e32 v1, 0x80000000, v1
	s_nop 0
	v_cndmask_b32_e32 v7, v7, v9, vcc
	v_cndmask_b32_e32 v3, v5, v3, vcc
	v_mov_b32_e32 v5, 0x3b800000
	v_lshlrev_b32_e32 v3, 20, v3
	v_lshl_add_u32 v5, v7, 23, v5
	v_or3_b32 v1, v1, v5, v3
.LBB19_1374:
	s_or_b64 exec, exec, s[12:13]
.LBB19_1375:
	s_mov_b64 s[10:11], -1
.LBB19_1376:
	s_branch .LBB19_1409
.LBB19_1377:
	s_cmp_gt_i32 s18, 22
	s_cbranch_scc0 .LBB19_1387
; %bb.1378:
	s_cmp_lt_i32 s18, 24
	s_cbranch_scc1 .LBB19_1390
; %bb.1379:
	s_cmp_gt_i32 s18, 24
	s_cbranch_scc0 .LBB19_1391
; %bb.1380:
	global_load_ubyte v3, v[10:11], off
	s_movk_i32 s8, 0x7f
	s_waitcnt vmcnt(0)
	v_cmp_lt_i16_e32 vcc, s8, v3
	s_mov_b64 s[8:9], 0
	s_and_saveexec_b64 s[10:11], vcc
	s_xor_b64 s[10:11], exec, s[10:11]
	s_cbranch_execz .LBB19_1403
; %bb.1381:
	s_movk_i32 s8, 0x80
	v_cmp_eq_u16_e32 vcc, s8, v3
	s_mov_b64 s[8:9], -1
	s_and_saveexec_b64 s[12:13], vcc
; %bb.1382:
	s_xor_b64 s[8:9], exec, -1
; %bb.1383:
	s_or_b64 exec, exec, s[12:13]
	s_and_b64 s[8:9], s[8:9], exec
	s_or_saveexec_b64 s[10:11], s[10:11]
	v_mov_b32_e32 v1, 0x7f800001
	s_xor_b64 exec, exec, s[10:11]
	s_cbranch_execnz .LBB19_1404
.LBB19_1384:
	s_or_b64 exec, exec, s[10:11]
	s_and_saveexec_b64 s[10:11], s[8:9]
	s_cbranch_execz .LBB19_1386
.LBB19_1385:
	v_lshlrev_b32_e32 v1, 24, v3
	v_and_b32_e32 v3, 0xffff, v3
	v_and_b32_e32 v5, 3, v3
	v_ffbh_u32_e32 v9, v5
	v_min_u32_e32 v9, 32, v9
	v_subrev_u32_e32 v13, 29, v9
	v_bfe_u32 v7, v3, 2, 5
	v_lshlrev_b32_e32 v3, v13, v3
	v_sub_u32_e32 v9, 30, v9
	v_and_b32_e32 v3, 3, v3
	v_cmp_eq_u32_e32 vcc, 0, v7
	v_and_b32_e32 v1, 0x80000000, v1
	s_nop 0
	v_cndmask_b32_e32 v7, v7, v9, vcc
	v_cndmask_b32_e32 v3, v5, v3, vcc
	v_mov_b32_e32 v5, 0x37800000
	v_lshlrev_b32_e32 v3, 21, v3
	v_lshl_add_u32 v5, v7, 23, v5
	v_or3_b32 v1, v1, v5, v3
.LBB19_1386:
	s_or_b64 exec, exec, s[10:11]
	s_mov_b64 s[8:9], 0
	s_branch .LBB19_1392
.LBB19_1387:
	s_mov_b64 s[8:9], -1
                                        ; implicit-def: $vgpr1
	s_branch .LBB19_1398
.LBB19_1388:
	s_or_saveexec_b64 s[12:13], s[12:13]
	v_mov_b32_e32 v1, 0x7f800001
	s_xor_b64 exec, exec, s[12:13]
	s_cbranch_execz .LBB19_1372
.LBB19_1389:
	v_cmp_ne_u16_e32 vcc, 0, v3
	s_andn2_b64 s[10:11], s[10:11], exec
	s_and_b64 s[14:15], vcc, exec
	v_mov_b32_e32 v1, 0
	s_or_b64 s[10:11], s[10:11], s[14:15]
	s_or_b64 exec, exec, s[12:13]
	s_and_saveexec_b64 s[12:13], s[10:11]
	s_cbranch_execnz .LBB19_1373
	s_branch .LBB19_1374
.LBB19_1390:
	s_mov_b64 s[8:9], -1
                                        ; implicit-def: $vgpr1
	s_branch .LBB19_1395
.LBB19_1391:
	s_mov_b64 s[8:9], -1
                                        ; implicit-def: $vgpr1
.LBB19_1392:
	s_and_b64 vcc, exec, s[8:9]
	s_cbranch_vccz .LBB19_1394
; %bb.1393:
	global_load_ubyte v1, v[10:11], off
	s_mov_b32 s8, 0x7f800000
	s_waitcnt vmcnt(0)
	v_lshlrev_b32_e32 v1, 24, v1
	v_and_b32_e32 v3, 0x7f000000, v1
	v_ffbh_u32_e32 v5, v3
	v_min_u32_e32 v5, 32, v5
	v_sub_u32_e64 v5, v5, 4 clamp
	v_lshlrev_b32_e32 v9, v5, v3
	v_lshlrev_b32_e32 v5, 23, v5
	v_lshrrev_b32_e32 v9, 4, v9
	v_add_u32_e32 v7, 0x1000000, v3
	v_sub_u32_e32 v5, v9, v5
	v_ashrrev_i32_e32 v7, 8, v7
	v_add_u32_e32 v5, 0x3c000000, v5
	v_and_or_b32 v5, v7, s8, v5
	v_cmp_ne_u32_e32 vcc, 0, v3
	s_brev_b32 s8, 1
	s_nop 0
	v_cndmask_b32_e32 v3, 0, v5, vcc
	v_and_or_b32 v1, v1, s8, v3
.LBB19_1394:
	s_mov_b64 s[8:9], 0
.LBB19_1395:
	s_andn2_b64 vcc, exec, s[8:9]
	s_cbranch_vccnz .LBB19_1397
; %bb.1396:
	global_load_ubyte v1, v[10:11], off
	s_movk_i32 s8, 0x7f00
	s_brev_b32 s9, 16
	s_waitcnt vmcnt(0)
	v_lshlrev_b16_e32 v3, 8, v1
	v_lshlrev_b32_e32 v1, 25, v1
	v_lshrrev_b32_e32 v5, 4, v1
	v_and_or_b32 v7, v3, s8, 0.5
	v_or_b32_e32 v5, 0x70000000, v5
	v_add_f32_e32 v7, -0.5, v7
	v_mul_f32_e32 v5, 0x7800000, v5
	v_cmp_gt_u32_e32 vcc, s9, v1
	v_bfe_i32 v3, v3, 0, 16
	s_brev_b32 s8, 1
	v_cndmask_b32_e32 v1, v5, v7, vcc
	v_and_or_b32 v1, v3, s8, v1
.LBB19_1397:
	s_mov_b64 s[8:9], 0
	s_mov_b64 s[10:11], -1
.LBB19_1398:
	s_andn2_b64 vcc, exec, s[8:9]
	s_mov_b64 s[8:9], 0
	s_cbranch_vccnz .LBB19_1409
; %bb.1399:
	s_cmp_gt_i32 s18, 14
	s_cbranch_scc0 .LBB19_1402
; %bb.1400:
	s_cmp_eq_u32 s18, 15
	s_cbranch_scc0 .LBB19_1405
; %bb.1401:
	global_load_ushort v1, v[10:11], off
	s_mov_b64 s[0:1], 0
	s_mov_b64 s[10:11], -1
	s_waitcnt vmcnt(0)
	v_lshlrev_b32_e32 v1, 16, v1
	s_branch .LBB19_1406
.LBB19_1402:
	s_mov_b64 s[12:13], -1
                                        ; implicit-def: $vgpr1
	s_branch .LBB19_1407
.LBB19_1403:
	s_or_saveexec_b64 s[10:11], s[10:11]
	v_mov_b32_e32 v1, 0x7f800001
	s_xor_b64 exec, exec, s[10:11]
	s_cbranch_execz .LBB19_1384
.LBB19_1404:
	v_cmp_ne_u16_e32 vcc, 0, v3
	s_andn2_b64 s[8:9], s[8:9], exec
	s_and_b64 s[12:13], vcc, exec
	v_mov_b32_e32 v1, 0
	s_or_b64 s[8:9], s[8:9], s[12:13]
	s_or_b64 exec, exec, s[10:11]
	s_and_saveexec_b64 s[10:11], s[8:9]
	s_cbranch_execnz .LBB19_1385
	s_branch .LBB19_1386
.LBB19_1405:
	s_mov_b64 s[0:1], -1
                                        ; implicit-def: $vgpr1
.LBB19_1406:
	s_mov_b64 s[12:13], 0
.LBB19_1407:
	s_and_b64 vcc, exec, s[12:13]
	s_cbranch_vccz .LBB19_1409
; %bb.1408:
	s_cmp_lg_u32 s18, 11
	s_mov_b64 s[8:9], -1
	s_cselect_b64 s[0:1], -1, 0
.LBB19_1409:
	s_and_b64 vcc, exec, s[0:1]
	s_cbranch_vccnz .LBB19_1484
; %bb.1410:
	s_andn2_b64 vcc, exec, s[8:9]
	s_cbranch_vccnz .LBB19_1412
.LBB19_1411:
	global_load_ubyte v1, v[10:11], off
	s_mov_b64 s[10:11], -1
	s_waitcnt vmcnt(0)
	v_cmp_ne_u16_e32 vcc, 0, v1
	s_nop 1
	v_cndmask_b32_e64 v1, 0, 1.0, vcc
.LBB19_1412:
	s_branch .LBB19_1339
.LBB19_1413:
	s_and_b32 s8, 0xffff, s17
	s_cmp_lt_i32 s8, 5
	s_cbranch_scc1 .LBB19_1418
; %bb.1414:
	s_cmp_lt_i32 s8, 8
	s_cbranch_scc1 .LBB19_1419
; %bb.1415:
	s_cmp_lt_i32 s8, 9
	s_cbranch_scc1 .LBB19_1420
; %bb.1416:
	s_cmp_gt_i32 s8, 9
	s_cbranch_scc0 .LBB19_1421
; %bb.1417:
	global_load_dwordx2 v[16:17], v[10:11], off
	s_mov_b64 s[0:1], 0
	s_waitcnt vmcnt(0)
	v_cvt_f32_f64_e32 v1, v[16:17]
	s_branch .LBB19_1422
.LBB19_1418:
                                        ; implicit-def: $vgpr1
	s_branch .LBB19_1440
.LBB19_1419:
	s_mov_b64 s[0:1], -1
                                        ; implicit-def: $vgpr1
	s_branch .LBB19_1428
.LBB19_1420:
	s_mov_b64 s[0:1], -1
                                        ; implicit-def: $vgpr1
	s_branch .LBB19_1425
.LBB19_1421:
	s_mov_b64 s[0:1], -1
                                        ; implicit-def: $vgpr1
.LBB19_1422:
	s_andn2_b64 vcc, exec, s[0:1]
	s_cbranch_vccnz .LBB19_1424
; %bb.1423:
	global_load_dword v1, v[10:11], off
.LBB19_1424:
	s_mov_b64 s[0:1], 0
.LBB19_1425:
	s_andn2_b64 vcc, exec, s[0:1]
	s_cbranch_vccnz .LBB19_1427
; %bb.1426:
	global_load_dword v1, v[10:11], off
	s_waitcnt vmcnt(0)
	v_cvt_f32_f16_e32 v1, v1
.LBB19_1427:
	s_mov_b64 s[0:1], 0
.LBB19_1428:
	s_andn2_b64 vcc, exec, s[0:1]
	s_cbranch_vccnz .LBB19_1439
; %bb.1429:
	s_cmp_lt_i32 s8, 6
	s_cbranch_scc1 .LBB19_1432
; %bb.1430:
	s_cmp_gt_i32 s8, 6
	s_cbranch_scc0 .LBB19_1433
; %bb.1431:
	global_load_dwordx2 v[16:17], v[10:11], off
	s_mov_b64 s[0:1], 0
	s_waitcnt vmcnt(0)
	v_cvt_f32_f64_e32 v1, v[16:17]
	s_branch .LBB19_1434
.LBB19_1432:
	s_mov_b64 s[0:1], -1
                                        ; implicit-def: $vgpr1
	s_branch .LBB19_1437
.LBB19_1433:
	s_mov_b64 s[0:1], -1
                                        ; implicit-def: $vgpr1
.LBB19_1434:
	s_andn2_b64 vcc, exec, s[0:1]
	s_cbranch_vccnz .LBB19_1436
; %bb.1435:
	global_load_dword v1, v[10:11], off
.LBB19_1436:
	s_mov_b64 s[0:1], 0
.LBB19_1437:
	s_andn2_b64 vcc, exec, s[0:1]
	s_cbranch_vccnz .LBB19_1439
; %bb.1438:
	global_load_ushort v1, v[10:11], off
	s_waitcnt vmcnt(0)
	v_cvt_f32_f16_e32 v1, v1
.LBB19_1439:
	s_cbranch_execnz .LBB19_1459
.LBB19_1440:
	s_cmp_lt_i32 s8, 2
	s_cbranch_scc1 .LBB19_1444
; %bb.1441:
	s_cmp_lt_i32 s8, 3
	s_cbranch_scc1 .LBB19_1445
; %bb.1442:
	s_cmp_gt_i32 s8, 3
	s_cbranch_scc0 .LBB19_1446
; %bb.1443:
	global_load_dwordx2 v[16:17], v[10:11], off
	s_mov_b64 s[0:1], 0
	s_waitcnt vmcnt(0)
	v_xor_b32_e32 v3, v16, v17
	v_ffbh_i32_e32 v1, v17
	v_ashrrev_i32_e32 v3, 31, v3
	v_add_u32_e32 v1, -1, v1
	v_add_u32_e32 v3, 32, v3
	v_min_u32_e32 v1, v1, v3
	v_lshlrev_b64 v[16:17], v1, v[16:17]
	v_min_u32_e32 v3, 1, v16
	v_or_b32_e32 v3, v17, v3
	v_cvt_f32_i32_e32 v3, v3
	v_sub_u32_e32 v1, 32, v1
	v_ldexp_f32 v1, v3, v1
	s_branch .LBB19_1447
.LBB19_1444:
	s_mov_b64 s[0:1], -1
                                        ; implicit-def: $vgpr1
	s_branch .LBB19_1453
.LBB19_1445:
	s_mov_b64 s[0:1], -1
                                        ; implicit-def: $vgpr1
	s_branch .LBB19_1450
.LBB19_1446:
	s_mov_b64 s[0:1], -1
                                        ; implicit-def: $vgpr1
.LBB19_1447:
	s_andn2_b64 vcc, exec, s[0:1]
	s_cbranch_vccnz .LBB19_1449
; %bb.1448:
	global_load_dword v1, v[10:11], off
	s_waitcnt vmcnt(0)
	v_cvt_f32_i32_e32 v1, v1
.LBB19_1449:
	s_mov_b64 s[0:1], 0
.LBB19_1450:
	s_andn2_b64 vcc, exec, s[0:1]
	s_cbranch_vccnz .LBB19_1452
; %bb.1451:
	global_load_sshort v1, v[10:11], off
	s_waitcnt vmcnt(0)
	v_cvt_f32_i32_e32 v1, v1
.LBB19_1452:
	s_mov_b64 s[0:1], 0
.LBB19_1453:
	s_andn2_b64 vcc, exec, s[0:1]
	s_cbranch_vccnz .LBB19_1459
; %bb.1454:
	s_cmp_gt_i32 s8, 0
	s_cbranch_scc0 .LBB19_1456
; %bb.1455:
	global_load_sbyte v1, v[10:11], off
	s_mov_b64 s[0:1], 0
	s_waitcnt vmcnt(0)
	v_cvt_f32_i32_e32 v1, v1
	s_branch .LBB19_1457
.LBB19_1456:
	s_mov_b64 s[0:1], -1
                                        ; implicit-def: $vgpr1
.LBB19_1457:
	s_andn2_b64 vcc, exec, s[0:1]
	s_cbranch_vccnz .LBB19_1459
; %bb.1458:
	global_load_ubyte v1, v[10:11], off
	s_waitcnt vmcnt(0)
	v_cvt_f32_ubyte0_e32 v1, v1
.LBB19_1459:
.LBB19_1460:
	s_mov_b32 s0, 0x41000000
	s_waitcnt vmcnt(0)
	v_cmp_le_f32_e64 s[0:1], |v1|, s0
                                        ; implicit-def: $vgpr10
	s_and_saveexec_b64 s[8:9], s[0:1]
	s_xor_b64 s[8:9], exec, s[8:9]
	s_cbranch_execz .LBB19_1466
; %bb.1461:
	v_fma_f32 v3, |v1|, 0.5, -2.0
	v_mov_b32_e32 v5, 0xa3c2be86
	v_fmac_f32_e32 v5, 0x224cf950, v3
	v_fmaak_f32 v7, v3, v5, 0xa24cf950
	v_add_f32_e32 v7, 0x25331f1f, v7
	v_fma_f32 v5, v3, v7, -v5
	v_add_f32_e32 v5, 0xa69f5554, v5
	v_fma_f32 v7, v3, v5, -v7
	;; [unrolled: 2-line block ×25, first 2 shown]
	v_add_f32_e32 v5, 0xbe34a688, v5
	s_mov_b32 s0, 0x3fb8aa3b
	v_fma_f32 v3, v3, v5, -v7
	v_mul_f32_e64 v5, |v1|, s0
	v_rndne_f32_e32 v9, v5
	v_sub_f32_e32 v10, v5, v9
	v_fma_f32 v5, |v1|, s0, -v5
	s_mov_b32 s0, 0x32a5705f
	v_fma_f32 v5, |v1|, s0, v5
	v_add_f32_e32 v5, v10, v5
	v_exp_f32_e32 v5, v5
	v_cvt_i32_f32_e32 v9, v9
	s_mov_b32 s0, 0xc2ce8ed0
	v_add_f32_e32 v3, 0x3e81531c, v3
	v_cmp_nlt_f32_e64 s[0:1], |v1|, s0
	v_ldexp_f32 v5, v5, v9
	v_sub_f32_e32 v3, v3, v7
	v_cndmask_b32_e64 v5, 0, v5, s[0:1]
	s_mov_b32 s0, 0x42b17218
	v_mul_f32_e32 v3, 0.5, v3
	v_mov_b32_e32 v7, 0x7f800000
	v_cmp_ngt_f32_e64 s[0:1], |v1|, s0
	v_cmp_ngt_f32_e32 vcc, 0, v1
	v_mul_f32_e64 v3, |v1|, v3
	v_cndmask_b32_e64 v1, v7, v5, s[0:1]
                                        ; implicit-def: $vgpr10
	s_and_saveexec_b64 s[0:1], vcc
	s_xor_b64 s[0:1], exec, s[0:1]
; %bb.1462:
	v_mul_f32_e32 v10, v1, v3
                                        ; implicit-def: $vgpr1
                                        ; implicit-def: $vgpr3
; %bb.1463:
	s_andn2_saveexec_b64 s[0:1], s[0:1]
; %bb.1464:
	v_mul_f32_e64 v10, v3, -v1
; %bb.1465:
	s_or_b64 exec, exec, s[0:1]
                                        ; implicit-def: $vgpr1
.LBB19_1466:
	s_andn2_saveexec_b64 s[8:9], s[8:9]
	s_cbranch_execz .LBB19_1472
; %bb.1467:
	v_and_b32_e32 v3, 0x7fffffff, v1
	s_mov_b32 s10, 0x42000000
	v_div_scale_f32 v5, s[0:1], v3, v3, s10
	v_rcp_f32_e32 v7, v5
	v_div_scale_f32 v3, vcc, s10, v3, s10
	s_mov_b32 s0, 0x3fb8aa3b
	v_fma_f32 v9, -v5, v7, 1.0
	v_fmac_f32_e32 v7, v9, v7
	v_mul_f32_e32 v9, v3, v7
	v_fma_f32 v10, -v5, v9, v3
	v_fmac_f32_e32 v9, v10, v7
	v_fma_f32 v3, -v5, v9, v3
	v_div_fmas_f32 v3, v3, v7, v9
	v_div_fixup_f32 v3, v3, |v1|, s10
	v_add_f32_e32 v3, -2.0, v3
	v_mov_b32_e32 v5, 0x22a2dc57
	v_fmac_f32_e32 v5, 0x230aab6e, v3
	v_fmaak_f32 v7, v3, v5, 0xa30aab6e
	v_add_f32_e32 v7, 0xa456751e, v7
	v_fma_f32 v5, v3, v7, -v5
	v_add_f32_e32 v5, 0xa4140365, v5
	v_fma_f32 v7, v3, v5, -v7
	;; [unrolled: 2-line block ×18, first 2 shown]
	v_mul_f32_e64 v9, |v1|, s0
	v_add_f32_e32 v7, 0xb486dfe9, v7
	v_rndne_f32_e32 v10, v9
	v_fma_f32 v5, v3, v7, -v5
	v_sub_f32_e32 v11, v9, v10
	v_fma_f32 v9, |v1|, s0, -v9
	s_mov_b32 s0, 0x32a5705f
	v_add_f32_e32 v5, 0xb68246fa, v5
	v_fma_f32 v9, |v1|, s0, v9
	v_fma_f32 v7, v3, v5, -v7
	v_add_f32_e32 v9, v11, v9
	v_add_f32_e32 v7, 0xb8e7ebfc, v7
	v_exp_f32_e32 v9, v9
	v_cvt_i32_f32_e32 v10, v10
	v_fma_f32 v5, v3, v7, -v5
	v_add_f32_e32 v5, 0xbc1fed03, v5
	v_fma_f32 v3, v3, v5, -v7
	s_mov_b32 s0, 0xc2ce8ed0
	v_add_f32_e32 v5, 0x3f4750c6, v3
	v_ldexp_f32 v3, v9, v10
	v_cmp_nlt_f32_e64 s[0:1], |v1|, s0
	v_mov_b32_e32 v9, 0x7f800000
	v_cmp_ngt_f32_e32 vcc, 0, v1
	v_cndmask_b32_e64 v3, 0, v3, s[0:1]
	s_mov_b32 s0, 0x42b17218
	v_cmp_ngt_f32_e64 s[0:1], |v1|, s0
	v_sub_f32_e32 v5, v5, v7
                                        ; implicit-def: $vgpr10
	s_nop 0
	v_cndmask_b32_e64 v3, v9, v3, s[0:1]
	s_and_saveexec_b64 s[0:1], vcc
	s_xor_b64 s[10:11], exec, s[0:1]
	s_cbranch_execz .LBB19_1469
; %bb.1468:
	s_mov_b32 s0, 0xf800000
	s_mov_b32 s1, 0x4f800000
	v_mul_f32_e64 v7, |v1|, s1
	v_cmp_lt_f32_e64 vcc, |v1|, s0
	v_mul_f32_e32 v5, 0.5, v5
	v_mul_f32_e32 v3, v3, v5
	v_cndmask_b32_e64 v1, |v1|, v7, vcc
	v_sqrt_f32_e32 v7, v1
	s_nop 0
	v_add_u32_e32 v5, -1, v7
	v_fma_f32 v9, -v5, v7, v1
	v_cmp_ge_f32_e64 s[0:1], 0, v9
	v_add_u32_e32 v9, 1, v7
	s_nop 0
	v_cndmask_b32_e64 v5, v7, v5, s[0:1]
	v_fma_f32 v7, -v9, v7, v1
	v_cmp_lt_f32_e64 s[0:1], 0, v7
	s_nop 1
	v_cndmask_b32_e64 v5, v5, v9, s[0:1]
	v_mul_f32_e32 v7, 0x37800000, v5
	v_cndmask_b32_e32 v5, v5, v7, vcc
	v_mov_b32_e32 v7, 0x260
	v_cmp_class_f32_e32 vcc, v1, v7
	s_nop 1
	v_cndmask_b32_e32 v1, v5, v1, vcc
	v_div_scale_f32 v5, s[0:1], v1, v1, v3
	v_rcp_f32_e32 v7, v5
	s_nop 0
	v_fma_f32 v9, -v5, v7, 1.0
	v_fmac_f32_e32 v7, v9, v7
	v_div_scale_f32 v9, vcc, v3, v1, v3
	v_mul_f32_e32 v10, v9, v7
	v_fma_f32 v11, -v5, v10, v9
	v_fmac_f32_e32 v10, v11, v7
	v_fma_f32 v5, -v5, v10, v9
	v_div_fmas_f32 v5, v5, v7, v10
	v_div_fixup_f32 v10, v5, v1, v3
                                        ; implicit-def: $vgpr1
                                        ; implicit-def: $vgpr5
                                        ; implicit-def: $vgpr3
.LBB19_1469:
	s_andn2_saveexec_b64 s[10:11], s[10:11]
	s_cbranch_execz .LBB19_1471
; %bb.1470:
	s_mov_b32 s0, 0xf800000
	s_mov_b32 s1, 0x4f800000
	v_mul_f32_e64 v7, |v1|, s1
	v_cmp_lt_f32_e64 vcc, |v1|, s0
	v_mul_f32_e32 v5, -0.5, v5
	v_mul_f32_e32 v3, v3, v5
	v_cndmask_b32_e64 v1, |v1|, v7, vcc
	v_sqrt_f32_e32 v7, v1
	s_nop 0
	v_add_u32_e32 v9, -1, v7
	v_fma_f32 v10, -v9, v7, v1
	v_cmp_ge_f32_e64 s[0:1], 0, v10
	v_add_u32_e32 v10, 1, v7
	s_nop 0
	v_cndmask_b32_e64 v9, v7, v9, s[0:1]
	v_fma_f32 v7, -v10, v7, v1
	v_cmp_lt_f32_e64 s[0:1], 0, v7
	s_nop 1
	v_cndmask_b32_e64 v7, v9, v10, s[0:1]
	v_mul_f32_e32 v9, 0x37800000, v7
	v_cndmask_b32_e32 v7, v7, v9, vcc
	v_mov_b32_e32 v9, 0x260
	v_cmp_class_f32_e32 vcc, v1, v9
	s_nop 1
	v_cndmask_b32_e32 v1, v7, v1, vcc
	v_div_scale_f32 v5, s[0:1], v1, v1, v3
	v_rcp_f32_e32 v7, v5
	s_nop 0
	v_fma_f32 v9, -v5, v7, 1.0
	v_fmac_f32_e32 v7, v9, v7
	v_div_scale_f32 v9, vcc, v3, v1, v3
	v_mul_f32_e32 v10, v9, v7
	v_fma_f32 v11, -v5, v10, v9
	v_fmac_f32_e32 v10, v11, v7
	v_fma_f32 v5, -v5, v10, v9
	v_div_fmas_f32 v5, v5, v7, v10
	v_div_fixup_f32 v10, v5, v1, v3
.LBB19_1471:
	s_or_b64 exec, exec, s[10:11]
.LBB19_1472:
	s_or_b64 exec, exec, s[8:9]
	v_mov_b32_e32 v13, 0
	s_cmp_lt_i32 s17, 11
	v_lshl_add_u64 v[12:13], s[6:7], 0, v[12:13]
	s_cbranch_scc1 .LBB19_1479
; %bb.1473:
	s_and_b32 s18, 0xffff, s17
	s_cmp_gt_i32 s18, 25
	s_mov_b64 s[8:9], 0
	s_cbranch_scc0 .LBB19_1481
; %bb.1474:
	s_cmp_gt_i32 s18, 28
	s_cbranch_scc0 .LBB19_1482
; %bb.1475:
	s_cmp_gt_i32 s18, 43
	;; [unrolled: 3-line block ×3, first 2 shown]
	s_cbranch_scc0 .LBB19_1485
; %bb.1477:
	s_cmp_eq_u32 s18, 46
	s_mov_b64 s[12:13], 0
	s_cbranch_scc0 .LBB19_1486
; %bb.1478:
	global_load_dword v1, v[12:13], off
	s_mov_b64 s[0:1], 0
	s_mov_b64 s[10:11], -1
	s_waitcnt vmcnt(0)
	v_lshlrev_b32_e32 v1, 16, v1
	s_branch .LBB19_1487
.LBB19_1479:
	s_mov_b64 s[10:11], 0
                                        ; implicit-def: $vgpr1
	s_cbranch_execnz .LBB19_1553
.LBB19_1480:
	s_andn2_b64 vcc, exec, s[10:11]
	s_cbranch_vccnz .LBB19_1833
	s_branch .LBB19_1601
.LBB19_1481:
	s_mov_b64 s[12:13], -1
	s_mov_b64 s[10:11], 0
	s_mov_b64 s[0:1], 0
                                        ; implicit-def: $vgpr1
	s_branch .LBB19_1516
.LBB19_1482:
	s_mov_b64 s[12:13], -1
	s_mov_b64 s[10:11], 0
	s_mov_b64 s[0:1], 0
                                        ; implicit-def: $vgpr1
	s_branch .LBB19_1497
.LBB19_1483:
	s_mov_b64 s[12:13], -1
	s_mov_b64 s[10:11], 0
	s_mov_b64 s[0:1], 0
                                        ; implicit-def: $vgpr1
	s_branch .LBB19_1492
.LBB19_1484:
	s_trap 2
	s_or_b64 s[2:3], s[2:3], exec
	s_cbranch_execz .LBB19_1411
	s_branch .LBB19_1412
.LBB19_1485:
	s_mov_b64 s[12:13], -1
	s_mov_b64 s[10:11], 0
	s_mov_b64 s[0:1], 0
                                        ; implicit-def: $vgpr1
	s_branch .LBB19_1487
.LBB19_1486:
	s_mov_b64 s[0:1], -1
                                        ; implicit-def: $vgpr1
	s_mov_b64 s[10:11], 0
.LBB19_1487:
	s_and_b64 vcc, exec, s[12:13]
	s_cbranch_vccz .LBB19_1491
; %bb.1488:
	s_cmp_eq_u32 s18, 44
	s_cbranch_scc0 .LBB19_1490
; %bb.1489:
	global_load_ubyte v1, v[12:13], off
	s_movk_i32 s10, 0xff
	v_mov_b32_e32 v3, 0x7f800001
	v_mov_b32_e32 v5, 0x400000
	s_mov_b64 s[0:1], 0
	s_waitcnt vmcnt(0)
	v_lshlrev_b32_e32 v7, 23, v1
	v_cmp_ne_u32_e32 vcc, s10, v1
	s_mov_b64 s[10:11], -1
	s_nop 0
	v_cndmask_b32_e32 v3, v3, v7, vcc
	v_cmp_ne_u32_e32 vcc, 0, v1
	s_nop 1
	v_cndmask_b32_e32 v1, v5, v3, vcc
	s_branch .LBB19_1491
.LBB19_1490:
	s_mov_b64 s[0:1], -1
                                        ; implicit-def: $vgpr1
.LBB19_1491:
	s_mov_b64 s[12:13], 0
.LBB19_1492:
	s_and_b64 vcc, exec, s[12:13]
	s_cbranch_vccz .LBB19_1496
; %bb.1493:
	s_cmp_eq_u32 s18, 29
	s_cbranch_scc0 .LBB19_1495
; %bb.1494:
	global_load_dwordx2 v[16:17], v[12:13], off
	s_mov_b64 s[0:1], 0
	s_mov_b64 s[10:11], -1
	s_mov_b64 s[12:13], 0
	s_waitcnt vmcnt(0)
	v_ffbh_u32_e32 v1, v17
	v_min_u32_e32 v1, 32, v1
	v_lshlrev_b64 v[16:17], v1, v[16:17]
	v_min_u32_e32 v3, 1, v16
	v_or_b32_e32 v3, v17, v3
	v_cvt_f32_u32_e32 v3, v3
	v_sub_u32_e32 v1, 32, v1
	v_ldexp_f32 v1, v3, v1
	s_branch .LBB19_1497
.LBB19_1495:
	s_mov_b64 s[0:1], -1
                                        ; implicit-def: $vgpr1
.LBB19_1496:
	s_mov_b64 s[12:13], 0
.LBB19_1497:
	s_and_b64 vcc, exec, s[12:13]
	s_cbranch_vccz .LBB19_1515
; %bb.1498:
	s_cmp_lt_i32 s18, 27
	s_cbranch_scc1 .LBB19_1501
; %bb.1499:
	s_cmp_gt_i32 s18, 27
	s_cbranch_scc0 .LBB19_1502
; %bb.1500:
	global_load_dword v1, v[12:13], off
	s_mov_b64 s[10:11], 0
	s_waitcnt vmcnt(0)
	v_cvt_f32_u32_e32 v1, v1
	s_branch .LBB19_1503
.LBB19_1501:
	s_mov_b64 s[10:11], -1
                                        ; implicit-def: $vgpr1
	s_branch .LBB19_1506
.LBB19_1502:
	s_mov_b64 s[10:11], -1
                                        ; implicit-def: $vgpr1
.LBB19_1503:
	s_andn2_b64 vcc, exec, s[10:11]
	s_cbranch_vccnz .LBB19_1505
; %bb.1504:
	global_load_ushort v1, v[12:13], off
	s_waitcnt vmcnt(0)
	v_cvt_f32_u32_e32 v1, v1
.LBB19_1505:
	s_mov_b64 s[10:11], 0
.LBB19_1506:
	s_andn2_b64 vcc, exec, s[10:11]
	s_cbranch_vccnz .LBB19_1514
; %bb.1507:
	global_load_ubyte v3, v[12:13], off
	s_movk_i32 s10, 0x7f
	s_waitcnt vmcnt(0)
	v_cmp_lt_i16_e32 vcc, s10, v3
	s_mov_b64 s[10:11], 0
	s_and_saveexec_b64 s[12:13], vcc
	s_xor_b64 s[12:13], exec, s[12:13]
	s_cbranch_execz .LBB19_1528
; %bb.1508:
	s_movk_i32 s10, 0x80
	v_cmp_eq_u16_e32 vcc, s10, v3
	s_mov_b64 s[10:11], -1
	s_and_saveexec_b64 s[14:15], vcc
; %bb.1509:
	s_xor_b64 s[10:11], exec, -1
; %bb.1510:
	s_or_b64 exec, exec, s[14:15]
	s_and_b64 s[10:11], s[10:11], exec
	s_or_saveexec_b64 s[12:13], s[12:13]
	v_mov_b32_e32 v1, 0x7f800001
	s_xor_b64 exec, exec, s[12:13]
	s_cbranch_execnz .LBB19_1529
.LBB19_1511:
	s_or_b64 exec, exec, s[12:13]
	s_and_saveexec_b64 s[12:13], s[10:11]
	s_cbranch_execz .LBB19_1513
.LBB19_1512:
	v_lshlrev_b32_e32 v1, 24, v3
	v_and_b32_e32 v3, 0xffff, v3
	v_and_b32_e32 v5, 7, v3
	v_ffbh_u32_e32 v9, v5
	v_min_u32_e32 v9, 32, v9
	v_subrev_u32_e32 v11, 28, v9
	v_bfe_u32 v7, v3, 3, 4
	v_lshlrev_b32_e32 v3, v11, v3
	v_sub_u32_e32 v9, 29, v9
	v_and_b32_e32 v3, 7, v3
	v_cmp_eq_u32_e32 vcc, 0, v7
	v_and_b32_e32 v1, 0x80000000, v1
	s_nop 0
	v_cndmask_b32_e32 v7, v7, v9, vcc
	v_cndmask_b32_e32 v3, v5, v3, vcc
	v_mov_b32_e32 v5, 0x3b800000
	v_lshlrev_b32_e32 v3, 20, v3
	v_lshl_add_u32 v5, v7, 23, v5
	v_or3_b32 v1, v1, v5, v3
.LBB19_1513:
	s_or_b64 exec, exec, s[12:13]
.LBB19_1514:
	s_mov_b64 s[10:11], -1
.LBB19_1515:
	s_mov_b64 s[12:13], 0
.LBB19_1516:
	s_and_b64 vcc, exec, s[12:13]
	s_cbranch_vccz .LBB19_1549
; %bb.1517:
	s_cmp_gt_i32 s18, 22
	s_cbranch_scc0 .LBB19_1527
; %bb.1518:
	s_cmp_lt_i32 s18, 24
	s_cbranch_scc1 .LBB19_1530
; %bb.1519:
	s_cmp_gt_i32 s18, 24
	s_cbranch_scc0 .LBB19_1531
; %bb.1520:
	global_load_ubyte v3, v[12:13], off
	s_movk_i32 s8, 0x7f
	s_waitcnt vmcnt(0)
	v_cmp_lt_i16_e32 vcc, s8, v3
	s_mov_b64 s[8:9], 0
	s_and_saveexec_b64 s[10:11], vcc
	s_xor_b64 s[10:11], exec, s[10:11]
	s_cbranch_execz .LBB19_1543
; %bb.1521:
	s_movk_i32 s8, 0x80
	v_cmp_eq_u16_e32 vcc, s8, v3
	s_mov_b64 s[8:9], -1
	s_and_saveexec_b64 s[12:13], vcc
; %bb.1522:
	s_xor_b64 s[8:9], exec, -1
; %bb.1523:
	s_or_b64 exec, exec, s[12:13]
	s_and_b64 s[8:9], s[8:9], exec
	s_or_saveexec_b64 s[10:11], s[10:11]
	v_mov_b32_e32 v1, 0x7f800001
	s_xor_b64 exec, exec, s[10:11]
	s_cbranch_execnz .LBB19_1544
.LBB19_1524:
	s_or_b64 exec, exec, s[10:11]
	s_and_saveexec_b64 s[10:11], s[8:9]
	s_cbranch_execz .LBB19_1526
.LBB19_1525:
	v_lshlrev_b32_e32 v1, 24, v3
	v_and_b32_e32 v3, 0xffff, v3
	v_and_b32_e32 v5, 3, v3
	v_ffbh_u32_e32 v9, v5
	v_min_u32_e32 v9, 32, v9
	v_subrev_u32_e32 v11, 29, v9
	v_bfe_u32 v7, v3, 2, 5
	v_lshlrev_b32_e32 v3, v11, v3
	v_sub_u32_e32 v9, 30, v9
	v_and_b32_e32 v3, 3, v3
	v_cmp_eq_u32_e32 vcc, 0, v7
	v_and_b32_e32 v1, 0x80000000, v1
	s_nop 0
	v_cndmask_b32_e32 v7, v7, v9, vcc
	v_cndmask_b32_e32 v3, v5, v3, vcc
	v_mov_b32_e32 v5, 0x37800000
	v_lshlrev_b32_e32 v3, 21, v3
	v_lshl_add_u32 v5, v7, 23, v5
	v_or3_b32 v1, v1, v5, v3
.LBB19_1526:
	s_or_b64 exec, exec, s[10:11]
	s_mov_b64 s[8:9], 0
	s_branch .LBB19_1532
.LBB19_1527:
	s_mov_b64 s[8:9], -1
                                        ; implicit-def: $vgpr1
	s_branch .LBB19_1538
.LBB19_1528:
	s_or_saveexec_b64 s[12:13], s[12:13]
	v_mov_b32_e32 v1, 0x7f800001
	s_xor_b64 exec, exec, s[12:13]
	s_cbranch_execz .LBB19_1511
.LBB19_1529:
	v_cmp_ne_u16_e32 vcc, 0, v3
	s_andn2_b64 s[10:11], s[10:11], exec
	s_and_b64 s[14:15], vcc, exec
	v_mov_b32_e32 v1, 0
	s_or_b64 s[10:11], s[10:11], s[14:15]
	s_or_b64 exec, exec, s[12:13]
	s_and_saveexec_b64 s[12:13], s[10:11]
	s_cbranch_execnz .LBB19_1512
	s_branch .LBB19_1513
.LBB19_1530:
	s_mov_b64 s[8:9], -1
                                        ; implicit-def: $vgpr1
	s_branch .LBB19_1535
.LBB19_1531:
	s_mov_b64 s[8:9], -1
                                        ; implicit-def: $vgpr1
.LBB19_1532:
	s_and_b64 vcc, exec, s[8:9]
	s_cbranch_vccz .LBB19_1534
; %bb.1533:
	global_load_ubyte v1, v[12:13], off
	s_mov_b32 s8, 0x7f800000
	s_waitcnt vmcnt(0)
	v_lshlrev_b32_e32 v1, 24, v1
	v_and_b32_e32 v3, 0x7f000000, v1
	v_ffbh_u32_e32 v5, v3
	v_min_u32_e32 v5, 32, v5
	v_sub_u32_e64 v5, v5, 4 clamp
	v_lshlrev_b32_e32 v9, v5, v3
	v_lshlrev_b32_e32 v5, 23, v5
	v_lshrrev_b32_e32 v9, 4, v9
	v_add_u32_e32 v7, 0x1000000, v3
	v_sub_u32_e32 v5, v9, v5
	v_ashrrev_i32_e32 v7, 8, v7
	v_add_u32_e32 v5, 0x3c000000, v5
	v_and_or_b32 v5, v7, s8, v5
	v_cmp_ne_u32_e32 vcc, 0, v3
	s_brev_b32 s8, 1
	s_nop 0
	v_cndmask_b32_e32 v3, 0, v5, vcc
	v_and_or_b32 v1, v1, s8, v3
.LBB19_1534:
	s_mov_b64 s[8:9], 0
.LBB19_1535:
	s_andn2_b64 vcc, exec, s[8:9]
	s_cbranch_vccnz .LBB19_1537
; %bb.1536:
	global_load_ubyte v1, v[12:13], off
	s_movk_i32 s8, 0x7f00
	s_brev_b32 s9, 16
	s_waitcnt vmcnt(0)
	v_lshlrev_b16_e32 v3, 8, v1
	v_lshlrev_b32_e32 v1, 25, v1
	v_lshrrev_b32_e32 v5, 4, v1
	v_and_or_b32 v7, v3, s8, 0.5
	v_or_b32_e32 v5, 0x70000000, v5
	v_add_f32_e32 v7, -0.5, v7
	v_mul_f32_e32 v5, 0x7800000, v5
	v_cmp_gt_u32_e32 vcc, s9, v1
	v_bfe_i32 v3, v3, 0, 16
	s_brev_b32 s8, 1
	v_cndmask_b32_e32 v1, v5, v7, vcc
	v_and_or_b32 v1, v3, s8, v1
.LBB19_1537:
	s_mov_b64 s[8:9], 0
	s_mov_b64 s[10:11], -1
.LBB19_1538:
	s_andn2_b64 vcc, exec, s[8:9]
	s_mov_b64 s[8:9], 0
	s_cbranch_vccnz .LBB19_1549
; %bb.1539:
	s_cmp_gt_i32 s18, 14
	s_cbranch_scc0 .LBB19_1542
; %bb.1540:
	s_cmp_eq_u32 s18, 15
	s_cbranch_scc0 .LBB19_1545
; %bb.1541:
	global_load_ushort v1, v[12:13], off
	s_mov_b64 s[0:1], 0
	s_mov_b64 s[10:11], -1
	s_waitcnt vmcnt(0)
	v_lshlrev_b32_e32 v1, 16, v1
	s_branch .LBB19_1546
.LBB19_1542:
	s_mov_b64 s[12:13], -1
                                        ; implicit-def: $vgpr1
	s_branch .LBB19_1547
.LBB19_1543:
	s_or_saveexec_b64 s[10:11], s[10:11]
	v_mov_b32_e32 v1, 0x7f800001
	s_xor_b64 exec, exec, s[10:11]
	s_cbranch_execz .LBB19_1524
.LBB19_1544:
	v_cmp_ne_u16_e32 vcc, 0, v3
	s_andn2_b64 s[8:9], s[8:9], exec
	s_and_b64 s[12:13], vcc, exec
	v_mov_b32_e32 v1, 0
	s_or_b64 s[8:9], s[8:9], s[12:13]
	s_or_b64 exec, exec, s[10:11]
	s_and_saveexec_b64 s[10:11], s[8:9]
	s_cbranch_execnz .LBB19_1525
	s_branch .LBB19_1526
.LBB19_1545:
	s_mov_b64 s[0:1], -1
                                        ; implicit-def: $vgpr1
.LBB19_1546:
	s_mov_b64 s[12:13], 0
.LBB19_1547:
	s_and_b64 vcc, exec, s[12:13]
	s_cbranch_vccz .LBB19_1549
; %bb.1548:
	s_cmp_lg_u32 s18, 11
	s_mov_b64 s[8:9], -1
	s_cselect_b64 s[0:1], -1, 0
.LBB19_1549:
	s_and_b64 vcc, exec, s[0:1]
	s_cbranch_vccnz .LBB19_1624
; %bb.1550:
	s_andn2_b64 vcc, exec, s[8:9]
	s_cbranch_vccnz .LBB19_1552
.LBB19_1551:
	global_load_ubyte v1, v[12:13], off
	s_mov_b64 s[10:11], -1
	s_waitcnt vmcnt(0)
	v_cmp_ne_u16_e32 vcc, 0, v1
	s_nop 1
	v_cndmask_b32_e64 v1, 0, 1.0, vcc
.LBB19_1552:
	s_branch .LBB19_1480
.LBB19_1553:
	s_and_b32 s8, 0xffff, s17
	s_cmp_lt_i32 s8, 5
	s_cbranch_scc1 .LBB19_1558
; %bb.1554:
	s_cmp_lt_i32 s8, 8
	s_cbranch_scc1 .LBB19_1559
; %bb.1555:
	;; [unrolled: 3-line block ×3, first 2 shown]
	s_cmp_gt_i32 s8, 9
	s_cbranch_scc0 .LBB19_1561
; %bb.1557:
	global_load_dwordx2 v[16:17], v[12:13], off
	s_mov_b64 s[0:1], 0
	s_waitcnt vmcnt(0)
	v_cvt_f32_f64_e32 v1, v[16:17]
	s_branch .LBB19_1562
.LBB19_1558:
	s_mov_b64 s[0:1], -1
                                        ; implicit-def: $vgpr1
	s_branch .LBB19_1580
.LBB19_1559:
	s_mov_b64 s[0:1], -1
                                        ; implicit-def: $vgpr1
	s_branch .LBB19_1568
.LBB19_1560:
	s_mov_b64 s[0:1], -1
                                        ; implicit-def: $vgpr1
	s_branch .LBB19_1565
.LBB19_1561:
	s_mov_b64 s[0:1], -1
                                        ; implicit-def: $vgpr1
.LBB19_1562:
	s_andn2_b64 vcc, exec, s[0:1]
	s_cbranch_vccnz .LBB19_1564
; %bb.1563:
	global_load_dword v1, v[12:13], off
.LBB19_1564:
	s_mov_b64 s[0:1], 0
.LBB19_1565:
	s_andn2_b64 vcc, exec, s[0:1]
	s_cbranch_vccnz .LBB19_1567
; %bb.1566:
	global_load_dword v1, v[12:13], off
	s_waitcnt vmcnt(0)
	v_cvt_f32_f16_e32 v1, v1
.LBB19_1567:
	s_mov_b64 s[0:1], 0
.LBB19_1568:
	s_andn2_b64 vcc, exec, s[0:1]
	s_cbranch_vccnz .LBB19_1579
; %bb.1569:
	s_cmp_lt_i32 s8, 6
	s_cbranch_scc1 .LBB19_1572
; %bb.1570:
	s_cmp_gt_i32 s8, 6
	s_cbranch_scc0 .LBB19_1573
; %bb.1571:
	global_load_dwordx2 v[16:17], v[12:13], off
	s_mov_b64 s[0:1], 0
	s_waitcnt vmcnt(0)
	v_cvt_f32_f64_e32 v1, v[16:17]
	s_branch .LBB19_1574
.LBB19_1572:
	s_mov_b64 s[0:1], -1
                                        ; implicit-def: $vgpr1
	s_branch .LBB19_1577
.LBB19_1573:
	s_mov_b64 s[0:1], -1
                                        ; implicit-def: $vgpr1
.LBB19_1574:
	s_andn2_b64 vcc, exec, s[0:1]
	s_cbranch_vccnz .LBB19_1576
; %bb.1575:
	global_load_dword v1, v[12:13], off
.LBB19_1576:
	s_mov_b64 s[0:1], 0
.LBB19_1577:
	s_andn2_b64 vcc, exec, s[0:1]
	s_cbranch_vccnz .LBB19_1579
; %bb.1578:
	global_load_ushort v1, v[12:13], off
	s_waitcnt vmcnt(0)
	v_cvt_f32_f16_e32 v1, v1
.LBB19_1579:
	s_mov_b64 s[0:1], 0
.LBB19_1580:
	s_andn2_b64 vcc, exec, s[0:1]
	s_cbranch_vccnz .LBB19_1600
; %bb.1581:
	s_cmp_lt_i32 s8, 2
	s_cbranch_scc1 .LBB19_1585
; %bb.1582:
	s_cmp_lt_i32 s8, 3
	s_cbranch_scc1 .LBB19_1586
; %bb.1583:
	s_cmp_gt_i32 s8, 3
	s_cbranch_scc0 .LBB19_1587
; %bb.1584:
	global_load_dwordx2 v[16:17], v[12:13], off
	s_mov_b64 s[0:1], 0
	s_waitcnt vmcnt(0)
	v_xor_b32_e32 v3, v16, v17
	v_ffbh_i32_e32 v1, v17
	v_ashrrev_i32_e32 v3, 31, v3
	v_add_u32_e32 v1, -1, v1
	v_add_u32_e32 v3, 32, v3
	v_min_u32_e32 v1, v1, v3
	v_lshlrev_b64 v[16:17], v1, v[16:17]
	v_min_u32_e32 v3, 1, v16
	v_or_b32_e32 v3, v17, v3
	v_cvt_f32_i32_e32 v3, v3
	v_sub_u32_e32 v1, 32, v1
	v_ldexp_f32 v1, v3, v1
	s_branch .LBB19_1588
.LBB19_1585:
	s_mov_b64 s[0:1], -1
                                        ; implicit-def: $vgpr1
	s_branch .LBB19_1594
.LBB19_1586:
	s_mov_b64 s[0:1], -1
                                        ; implicit-def: $vgpr1
	s_branch .LBB19_1591
.LBB19_1587:
	s_mov_b64 s[0:1], -1
                                        ; implicit-def: $vgpr1
.LBB19_1588:
	s_andn2_b64 vcc, exec, s[0:1]
	s_cbranch_vccnz .LBB19_1590
; %bb.1589:
	global_load_dword v1, v[12:13], off
	s_waitcnt vmcnt(0)
	v_cvt_f32_i32_e32 v1, v1
.LBB19_1590:
	s_mov_b64 s[0:1], 0
.LBB19_1591:
	s_andn2_b64 vcc, exec, s[0:1]
	s_cbranch_vccnz .LBB19_1593
; %bb.1592:
	global_load_sshort v1, v[12:13], off
	s_waitcnt vmcnt(0)
	v_cvt_f32_i32_e32 v1, v1
.LBB19_1593:
	s_mov_b64 s[0:1], 0
.LBB19_1594:
	s_andn2_b64 vcc, exec, s[0:1]
	s_cbranch_vccnz .LBB19_1600
; %bb.1595:
	s_cmp_gt_i32 s8, 0
	s_cbranch_scc0 .LBB19_1597
; %bb.1596:
	global_load_sbyte v1, v[12:13], off
	s_mov_b64 s[0:1], 0
	s_waitcnt vmcnt(0)
	v_cvt_f32_i32_e32 v1, v1
	s_branch .LBB19_1598
.LBB19_1597:
	s_mov_b64 s[0:1], -1
                                        ; implicit-def: $vgpr1
.LBB19_1598:
	s_andn2_b64 vcc, exec, s[0:1]
	s_cbranch_vccnz .LBB19_1600
; %bb.1599:
	global_load_ubyte v1, v[12:13], off
	s_waitcnt vmcnt(0)
	v_cvt_f32_ubyte0_e32 v1, v1
.LBB19_1600:
.LBB19_1601:
	s_mov_b32 s0, 0x41000000
	s_waitcnt vmcnt(0)
	v_cmp_le_f32_e64 s[0:1], |v1|, s0
                                        ; implicit-def: $vgpr12
	s_and_saveexec_b64 s[8:9], s[0:1]
	s_xor_b64 s[8:9], exec, s[8:9]
	s_cbranch_execz .LBB19_1607
; %bb.1602:
	v_fma_f32 v3, |v1|, 0.5, -2.0
	v_mov_b32_e32 v5, 0xa3c2be86
	v_fmac_f32_e32 v5, 0x224cf950, v3
	v_fmaak_f32 v7, v3, v5, 0xa24cf950
	v_add_f32_e32 v7, 0x25331f1f, v7
	v_fma_f32 v5, v3, v7, -v5
	v_add_f32_e32 v5, 0xa69f5554, v5
	v_fma_f32 v7, v3, v5, -v7
	;; [unrolled: 2-line block ×25, first 2 shown]
	v_add_f32_e32 v5, 0xbe34a688, v5
	s_mov_b32 s0, 0x3fb8aa3b
	v_fma_f32 v3, v3, v5, -v7
	v_mul_f32_e64 v5, |v1|, s0
	v_rndne_f32_e32 v9, v5
	v_sub_f32_e32 v11, v5, v9
	v_fma_f32 v5, |v1|, s0, -v5
	s_mov_b32 s0, 0x32a5705f
	v_fma_f32 v5, |v1|, s0, v5
	v_add_f32_e32 v5, v11, v5
	v_exp_f32_e32 v5, v5
	v_cvt_i32_f32_e32 v9, v9
	s_mov_b32 s0, 0xc2ce8ed0
	v_add_f32_e32 v3, 0x3e81531c, v3
	v_cmp_nlt_f32_e64 s[0:1], |v1|, s0
	v_ldexp_f32 v5, v5, v9
	v_sub_f32_e32 v3, v3, v7
	v_cndmask_b32_e64 v5, 0, v5, s[0:1]
	s_mov_b32 s0, 0x42b17218
	v_mul_f32_e32 v3, 0.5, v3
	v_mov_b32_e32 v7, 0x7f800000
	v_cmp_ngt_f32_e64 s[0:1], |v1|, s0
	v_cmp_ngt_f32_e32 vcc, 0, v1
	v_mul_f32_e64 v3, |v1|, v3
	v_cndmask_b32_e64 v1, v7, v5, s[0:1]
                                        ; implicit-def: $vgpr12
	s_and_saveexec_b64 s[0:1], vcc
	s_xor_b64 s[0:1], exec, s[0:1]
; %bb.1603:
	v_mul_f32_e32 v12, v1, v3
                                        ; implicit-def: $vgpr1
                                        ; implicit-def: $vgpr3
; %bb.1604:
	s_andn2_saveexec_b64 s[0:1], s[0:1]
; %bb.1605:
	v_mul_f32_e64 v12, v3, -v1
; %bb.1606:
	s_or_b64 exec, exec, s[0:1]
                                        ; implicit-def: $vgpr1
.LBB19_1607:
	s_andn2_saveexec_b64 s[8:9], s[8:9]
	s_cbranch_execz .LBB19_1613
; %bb.1608:
	v_and_b32_e32 v3, 0x7fffffff, v1
	s_mov_b32 s10, 0x42000000
	v_div_scale_f32 v5, s[0:1], v3, v3, s10
	v_rcp_f32_e32 v7, v5
	v_div_scale_f32 v3, vcc, s10, v3, s10
	s_mov_b32 s0, 0x3fb8aa3b
	v_fma_f32 v9, -v5, v7, 1.0
	v_fmac_f32_e32 v7, v9, v7
	v_mul_f32_e32 v9, v3, v7
	v_fma_f32 v11, -v5, v9, v3
	v_fmac_f32_e32 v9, v11, v7
	v_fma_f32 v3, -v5, v9, v3
	v_div_fmas_f32 v3, v3, v7, v9
	v_div_fixup_f32 v3, v3, |v1|, s10
	v_add_f32_e32 v3, -2.0, v3
	v_mov_b32_e32 v5, 0x22a2dc57
	v_fmac_f32_e32 v5, 0x230aab6e, v3
	v_fmaak_f32 v7, v3, v5, 0xa30aab6e
	v_add_f32_e32 v7, 0xa456751e, v7
	v_fma_f32 v5, v3, v7, -v5
	v_add_f32_e32 v5, 0xa4140365, v5
	v_fma_f32 v7, v3, v5, -v7
	;; [unrolled: 2-line block ×18, first 2 shown]
	v_mul_f32_e64 v9, |v1|, s0
	v_add_f32_e32 v7, 0xb486dfe9, v7
	v_rndne_f32_e32 v11, v9
	v_fma_f32 v5, v3, v7, -v5
	v_sub_f32_e32 v12, v9, v11
	v_fma_f32 v9, |v1|, s0, -v9
	s_mov_b32 s0, 0x32a5705f
	v_add_f32_e32 v5, 0xb68246fa, v5
	v_fma_f32 v9, |v1|, s0, v9
	v_fma_f32 v7, v3, v5, -v7
	v_add_f32_e32 v9, v12, v9
	v_add_f32_e32 v7, 0xb8e7ebfc, v7
	v_exp_f32_e32 v9, v9
	v_cvt_i32_f32_e32 v11, v11
	v_fma_f32 v5, v3, v7, -v5
	v_add_f32_e32 v5, 0xbc1fed03, v5
	v_fma_f32 v3, v3, v5, -v7
	s_mov_b32 s0, 0xc2ce8ed0
	v_add_f32_e32 v5, 0x3f4750c6, v3
	v_ldexp_f32 v3, v9, v11
	v_cmp_nlt_f32_e64 s[0:1], |v1|, s0
	v_mov_b32_e32 v9, 0x7f800000
	v_cmp_ngt_f32_e32 vcc, 0, v1
	v_cndmask_b32_e64 v3, 0, v3, s[0:1]
	s_mov_b32 s0, 0x42b17218
	v_cmp_ngt_f32_e64 s[0:1], |v1|, s0
	v_sub_f32_e32 v5, v5, v7
                                        ; implicit-def: $vgpr12
	s_nop 0
	v_cndmask_b32_e64 v3, v9, v3, s[0:1]
	s_and_saveexec_b64 s[0:1], vcc
	s_xor_b64 s[10:11], exec, s[0:1]
	s_cbranch_execz .LBB19_1610
; %bb.1609:
	s_mov_b32 s0, 0xf800000
	s_mov_b32 s1, 0x4f800000
	v_mul_f32_e64 v7, |v1|, s1
	v_cmp_lt_f32_e64 vcc, |v1|, s0
	v_mul_f32_e32 v5, 0.5, v5
	v_mul_f32_e32 v3, v3, v5
	v_cndmask_b32_e64 v1, |v1|, v7, vcc
	v_sqrt_f32_e32 v7, v1
	s_nop 0
	v_add_u32_e32 v5, -1, v7
	v_fma_f32 v9, -v5, v7, v1
	v_cmp_ge_f32_e64 s[0:1], 0, v9
	v_add_u32_e32 v9, 1, v7
	s_nop 0
	v_cndmask_b32_e64 v5, v7, v5, s[0:1]
	v_fma_f32 v7, -v9, v7, v1
	v_cmp_lt_f32_e64 s[0:1], 0, v7
	s_nop 1
	v_cndmask_b32_e64 v5, v5, v9, s[0:1]
	v_mul_f32_e32 v7, 0x37800000, v5
	v_cndmask_b32_e32 v5, v5, v7, vcc
	v_mov_b32_e32 v7, 0x260
	v_cmp_class_f32_e32 vcc, v1, v7
	s_nop 1
	v_cndmask_b32_e32 v1, v5, v1, vcc
	v_div_scale_f32 v5, s[0:1], v1, v1, v3
	v_rcp_f32_e32 v7, v5
	s_nop 0
	v_fma_f32 v9, -v5, v7, 1.0
	v_fmac_f32_e32 v7, v9, v7
	v_div_scale_f32 v9, vcc, v3, v1, v3
	v_mul_f32_e32 v11, v9, v7
	v_fma_f32 v12, -v5, v11, v9
	v_fmac_f32_e32 v11, v12, v7
	v_fma_f32 v5, -v5, v11, v9
	v_div_fmas_f32 v5, v5, v7, v11
	v_div_fixup_f32 v12, v5, v1, v3
                                        ; implicit-def: $vgpr1
                                        ; implicit-def: $vgpr5
                                        ; implicit-def: $vgpr3
.LBB19_1610:
	s_andn2_saveexec_b64 s[10:11], s[10:11]
	s_cbranch_execz .LBB19_1612
; %bb.1611:
	s_mov_b32 s0, 0xf800000
	s_mov_b32 s1, 0x4f800000
	v_mul_f32_e64 v7, |v1|, s1
	v_cmp_lt_f32_e64 vcc, |v1|, s0
	v_mul_f32_e32 v5, -0.5, v5
	v_mul_f32_e32 v3, v3, v5
	v_cndmask_b32_e64 v1, |v1|, v7, vcc
	v_sqrt_f32_e32 v7, v1
	s_nop 0
	v_add_u32_e32 v9, -1, v7
	v_fma_f32 v11, -v9, v7, v1
	v_cmp_ge_f32_e64 s[0:1], 0, v11
	v_add_u32_e32 v11, 1, v7
	s_nop 0
	v_cndmask_b32_e64 v9, v7, v9, s[0:1]
	v_fma_f32 v7, -v11, v7, v1
	v_cmp_lt_f32_e64 s[0:1], 0, v7
	s_nop 1
	v_cndmask_b32_e64 v7, v9, v11, s[0:1]
	v_mul_f32_e32 v9, 0x37800000, v7
	v_cndmask_b32_e32 v7, v7, v9, vcc
	v_mov_b32_e32 v9, 0x260
	v_cmp_class_f32_e32 vcc, v1, v9
	s_nop 1
	v_cndmask_b32_e32 v1, v7, v1, vcc
	v_div_scale_f32 v5, s[0:1], v1, v1, v3
	v_rcp_f32_e32 v7, v5
	s_nop 0
	v_fma_f32 v9, -v5, v7, 1.0
	v_fmac_f32_e32 v7, v9, v7
	v_div_scale_f32 v9, vcc, v3, v1, v3
	v_mul_f32_e32 v11, v9, v7
	v_fma_f32 v12, -v5, v11, v9
	v_fmac_f32_e32 v11, v12, v7
	v_fma_f32 v5, -v5, v11, v9
	v_div_fmas_f32 v5, v5, v7, v11
	v_div_fixup_f32 v12, v5, v1, v3
.LBB19_1612:
	s_or_b64 exec, exec, s[10:11]
.LBB19_1613:
	s_or_b64 exec, exec, s[8:9]
	v_mov_b32_e32 v15, 0
	s_cmp_lt_i32 s17, 11
	v_lshl_add_u64 v[14:15], s[6:7], 0, v[14:15]
	s_cbranch_scc1 .LBB19_1620
; %bb.1614:
	s_and_b32 s14, 0xffff, s17
	s_cmp_gt_i32 s14, 25
	s_mov_b64 s[6:7], 0
	s_cbranch_scc0 .LBB19_1621
; %bb.1615:
	s_cmp_gt_i32 s14, 28
	s_cbranch_scc0 .LBB19_1622
; %bb.1616:
	s_cmp_gt_i32 s14, 43
	s_cbranch_scc0 .LBB19_1623
; %bb.1617:
	s_cmp_gt_i32 s14, 45
	s_cbranch_scc0 .LBB19_1625
; %bb.1618:
	s_cmp_eq_u32 s14, 46
	s_mov_b64 s[10:11], 0
	s_cbranch_scc0 .LBB19_1626
; %bb.1619:
	global_load_dword v1, v[14:15], off
	s_mov_b64 s[0:1], 0
	s_mov_b64 s[8:9], -1
	s_waitcnt vmcnt(0)
	v_lshlrev_b32_e32 v1, 16, v1
	s_branch .LBB19_1627
.LBB19_1620:
	s_mov_b64 s[0:1], -1
	s_mov_b64 s[8:9], 0
                                        ; implicit-def: $vgpr1
	s_branch .LBB19_1693
.LBB19_1621:
	s_mov_b64 s[10:11], -1
	s_mov_b64 s[8:9], 0
	s_mov_b64 s[0:1], 0
                                        ; implicit-def: $vgpr1
	s_branch .LBB19_1656
.LBB19_1622:
	s_mov_b64 s[10:11], -1
	s_mov_b64 s[8:9], 0
	s_mov_b64 s[0:1], 0
                                        ; implicit-def: $vgpr1
	s_branch .LBB19_1637
.LBB19_1623:
	s_mov_b64 s[10:11], -1
	s_mov_b64 s[8:9], 0
	s_mov_b64 s[0:1], 0
                                        ; implicit-def: $vgpr1
	s_branch .LBB19_1632
.LBB19_1624:
	s_trap 2
	s_or_b64 s[2:3], s[2:3], exec
	s_cbranch_execz .LBB19_1551
	s_branch .LBB19_1552
.LBB19_1625:
	s_mov_b64 s[10:11], -1
	s_mov_b64 s[8:9], 0
	s_mov_b64 s[0:1], 0
                                        ; implicit-def: $vgpr1
	s_branch .LBB19_1627
.LBB19_1626:
	s_mov_b64 s[0:1], -1
                                        ; implicit-def: $vgpr1
	s_mov_b64 s[8:9], 0
.LBB19_1627:
	s_and_b64 vcc, exec, s[10:11]
	s_cbranch_vccz .LBB19_1631
; %bb.1628:
	s_cmp_eq_u32 s14, 44
	s_cbranch_scc0 .LBB19_1630
; %bb.1629:
	global_load_ubyte v1, v[14:15], off
	s_movk_i32 s8, 0xff
	v_mov_b32_e32 v3, 0x7f800001
	v_mov_b32_e32 v5, 0x400000
	s_mov_b64 s[0:1], 0
	s_waitcnt vmcnt(0)
	v_lshlrev_b32_e32 v7, 23, v1
	v_cmp_ne_u32_e32 vcc, s8, v1
	s_mov_b64 s[8:9], -1
	s_nop 0
	v_cndmask_b32_e32 v3, v3, v7, vcc
	v_cmp_ne_u32_e32 vcc, 0, v1
	s_nop 1
	v_cndmask_b32_e32 v1, v5, v3, vcc
	s_branch .LBB19_1631
.LBB19_1630:
	s_mov_b64 s[0:1], -1
                                        ; implicit-def: $vgpr1
.LBB19_1631:
	s_mov_b64 s[10:11], 0
.LBB19_1632:
	s_and_b64 vcc, exec, s[10:11]
	s_cbranch_vccz .LBB19_1636
; %bb.1633:
	s_cmp_eq_u32 s14, 29
	s_cbranch_scc0 .LBB19_1635
; %bb.1634:
	global_load_dwordx2 v[16:17], v[14:15], off
	s_mov_b64 s[0:1], 0
	s_mov_b64 s[8:9], -1
	s_mov_b64 s[10:11], 0
	s_waitcnt vmcnt(0)
	v_ffbh_u32_e32 v1, v17
	v_min_u32_e32 v1, 32, v1
	v_lshlrev_b64 v[16:17], v1, v[16:17]
	v_min_u32_e32 v3, 1, v16
	v_or_b32_e32 v3, v17, v3
	v_cvt_f32_u32_e32 v3, v3
	v_sub_u32_e32 v1, 32, v1
	v_ldexp_f32 v1, v3, v1
	s_branch .LBB19_1637
.LBB19_1635:
	s_mov_b64 s[0:1], -1
                                        ; implicit-def: $vgpr1
.LBB19_1636:
	s_mov_b64 s[10:11], 0
.LBB19_1637:
	s_and_b64 vcc, exec, s[10:11]
	s_cbranch_vccz .LBB19_1655
; %bb.1638:
	s_cmp_lt_i32 s14, 27
	s_cbranch_scc1 .LBB19_1641
; %bb.1639:
	s_cmp_gt_i32 s14, 27
	s_cbranch_scc0 .LBB19_1642
; %bb.1640:
	global_load_dword v1, v[14:15], off
	s_mov_b64 s[8:9], 0
	s_waitcnt vmcnt(0)
	v_cvt_f32_u32_e32 v1, v1
	s_branch .LBB19_1643
.LBB19_1641:
	s_mov_b64 s[8:9], -1
                                        ; implicit-def: $vgpr1
	s_branch .LBB19_1646
.LBB19_1642:
	s_mov_b64 s[8:9], -1
                                        ; implicit-def: $vgpr1
.LBB19_1643:
	s_andn2_b64 vcc, exec, s[8:9]
	s_cbranch_vccnz .LBB19_1645
; %bb.1644:
	global_load_ushort v1, v[14:15], off
	s_waitcnt vmcnt(0)
	v_cvt_f32_u32_e32 v1, v1
.LBB19_1645:
	s_mov_b64 s[8:9], 0
.LBB19_1646:
	s_andn2_b64 vcc, exec, s[8:9]
	s_cbranch_vccnz .LBB19_1654
; %bb.1647:
	global_load_ubyte v3, v[14:15], off
	s_movk_i32 s8, 0x7f
	s_waitcnt vmcnt(0)
	v_cmp_lt_i16_e32 vcc, s8, v3
	s_mov_b64 s[8:9], 0
	s_and_saveexec_b64 s[10:11], vcc
	s_xor_b64 s[10:11], exec, s[10:11]
	s_cbranch_execz .LBB19_1668
; %bb.1648:
	s_movk_i32 s8, 0x80
	v_cmp_eq_u16_e32 vcc, s8, v3
	s_mov_b64 s[8:9], -1
	s_and_saveexec_b64 s[12:13], vcc
; %bb.1649:
	s_xor_b64 s[8:9], exec, -1
; %bb.1650:
	s_or_b64 exec, exec, s[12:13]
	s_and_b64 s[8:9], s[8:9], exec
	s_or_saveexec_b64 s[10:11], s[10:11]
	v_mov_b32_e32 v1, 0x7f800001
	s_xor_b64 exec, exec, s[10:11]
	s_cbranch_execnz .LBB19_1669
.LBB19_1651:
	s_or_b64 exec, exec, s[10:11]
	s_and_saveexec_b64 s[10:11], s[8:9]
	s_cbranch_execz .LBB19_1653
.LBB19_1652:
	v_lshlrev_b32_e32 v1, 24, v3
	v_and_b32_e32 v3, 0xffff, v3
	v_and_b32_e32 v5, 7, v3
	v_ffbh_u32_e32 v9, v5
	v_min_u32_e32 v9, 32, v9
	v_subrev_u32_e32 v11, 28, v9
	v_bfe_u32 v7, v3, 3, 4
	v_lshlrev_b32_e32 v3, v11, v3
	v_sub_u32_e32 v9, 29, v9
	v_and_b32_e32 v3, 7, v3
	v_cmp_eq_u32_e32 vcc, 0, v7
	v_and_b32_e32 v1, 0x80000000, v1
	s_nop 0
	v_cndmask_b32_e32 v7, v7, v9, vcc
	v_cndmask_b32_e32 v3, v5, v3, vcc
	v_mov_b32_e32 v5, 0x3b800000
	v_lshlrev_b32_e32 v3, 20, v3
	v_lshl_add_u32 v5, v7, 23, v5
	v_or3_b32 v1, v1, v5, v3
.LBB19_1653:
	s_or_b64 exec, exec, s[10:11]
.LBB19_1654:
	s_mov_b64 s[8:9], -1
.LBB19_1655:
	s_mov_b64 s[10:11], 0
.LBB19_1656:
	s_and_b64 vcc, exec, s[10:11]
	s_cbranch_vccz .LBB19_1689
; %bb.1657:
	s_cmp_gt_i32 s14, 22
	s_cbranch_scc0 .LBB19_1667
; %bb.1658:
	s_cmp_lt_i32 s14, 24
	s_cbranch_scc1 .LBB19_1670
; %bb.1659:
	s_cmp_gt_i32 s14, 24
	s_cbranch_scc0 .LBB19_1671
; %bb.1660:
	global_load_ubyte v3, v[14:15], off
	s_movk_i32 s6, 0x7f
	s_waitcnt vmcnt(0)
	v_cmp_lt_i16_e32 vcc, s6, v3
	s_mov_b64 s[6:7], 0
	s_and_saveexec_b64 s[8:9], vcc
	s_xor_b64 s[8:9], exec, s[8:9]
	s_cbranch_execz .LBB19_1683
; %bb.1661:
	s_movk_i32 s6, 0x80
	v_cmp_eq_u16_e32 vcc, s6, v3
	s_mov_b64 s[6:7], -1
	s_and_saveexec_b64 s[10:11], vcc
; %bb.1662:
	s_xor_b64 s[6:7], exec, -1
; %bb.1663:
	s_or_b64 exec, exec, s[10:11]
	s_and_b64 s[6:7], s[6:7], exec
	s_or_saveexec_b64 s[8:9], s[8:9]
	v_mov_b32_e32 v1, 0x7f800001
	s_xor_b64 exec, exec, s[8:9]
	s_cbranch_execnz .LBB19_1684
.LBB19_1664:
	s_or_b64 exec, exec, s[8:9]
	s_and_saveexec_b64 s[8:9], s[6:7]
	s_cbranch_execz .LBB19_1666
.LBB19_1665:
	v_lshlrev_b32_e32 v1, 24, v3
	v_and_b32_e32 v3, 0xffff, v3
	v_and_b32_e32 v5, 3, v3
	v_ffbh_u32_e32 v9, v5
	v_min_u32_e32 v9, 32, v9
	v_subrev_u32_e32 v11, 29, v9
	v_bfe_u32 v7, v3, 2, 5
	v_lshlrev_b32_e32 v3, v11, v3
	v_sub_u32_e32 v9, 30, v9
	v_and_b32_e32 v3, 3, v3
	v_cmp_eq_u32_e32 vcc, 0, v7
	v_and_b32_e32 v1, 0x80000000, v1
	s_nop 0
	v_cndmask_b32_e32 v7, v7, v9, vcc
	v_cndmask_b32_e32 v3, v5, v3, vcc
	v_mov_b32_e32 v5, 0x37800000
	v_lshlrev_b32_e32 v3, 21, v3
	v_lshl_add_u32 v5, v7, 23, v5
	v_or3_b32 v1, v1, v5, v3
.LBB19_1666:
	s_or_b64 exec, exec, s[8:9]
	s_mov_b64 s[6:7], 0
	s_branch .LBB19_1672
.LBB19_1667:
	s_mov_b64 s[6:7], -1
                                        ; implicit-def: $vgpr1
	s_branch .LBB19_1678
.LBB19_1668:
	s_or_saveexec_b64 s[10:11], s[10:11]
	v_mov_b32_e32 v1, 0x7f800001
	s_xor_b64 exec, exec, s[10:11]
	s_cbranch_execz .LBB19_1651
.LBB19_1669:
	v_cmp_ne_u16_e32 vcc, 0, v3
	s_andn2_b64 s[8:9], s[8:9], exec
	s_and_b64 s[12:13], vcc, exec
	v_mov_b32_e32 v1, 0
	s_or_b64 s[8:9], s[8:9], s[12:13]
	s_or_b64 exec, exec, s[10:11]
	s_and_saveexec_b64 s[10:11], s[8:9]
	s_cbranch_execnz .LBB19_1652
	s_branch .LBB19_1653
.LBB19_1670:
	s_mov_b64 s[6:7], -1
                                        ; implicit-def: $vgpr1
	s_branch .LBB19_1675
.LBB19_1671:
	s_mov_b64 s[6:7], -1
                                        ; implicit-def: $vgpr1
.LBB19_1672:
	s_and_b64 vcc, exec, s[6:7]
	s_cbranch_vccz .LBB19_1674
; %bb.1673:
	global_load_ubyte v1, v[14:15], off
	s_mov_b32 s6, 0x7f800000
	s_waitcnt vmcnt(0)
	v_lshlrev_b32_e32 v1, 24, v1
	v_and_b32_e32 v3, 0x7f000000, v1
	v_ffbh_u32_e32 v5, v3
	v_min_u32_e32 v5, 32, v5
	v_sub_u32_e64 v5, v5, 4 clamp
	v_lshlrev_b32_e32 v9, v5, v3
	v_lshlrev_b32_e32 v5, 23, v5
	v_lshrrev_b32_e32 v9, 4, v9
	v_add_u32_e32 v7, 0x1000000, v3
	v_sub_u32_e32 v5, v9, v5
	v_ashrrev_i32_e32 v7, 8, v7
	v_add_u32_e32 v5, 0x3c000000, v5
	v_and_or_b32 v5, v7, s6, v5
	v_cmp_ne_u32_e32 vcc, 0, v3
	s_brev_b32 s6, 1
	s_nop 0
	v_cndmask_b32_e32 v3, 0, v5, vcc
	v_and_or_b32 v1, v1, s6, v3
.LBB19_1674:
	s_mov_b64 s[6:7], 0
.LBB19_1675:
	s_andn2_b64 vcc, exec, s[6:7]
	s_cbranch_vccnz .LBB19_1677
; %bb.1676:
	global_load_ubyte v1, v[14:15], off
	s_movk_i32 s6, 0x7f00
	s_brev_b32 s7, 16
	s_waitcnt vmcnt(0)
	v_lshlrev_b16_e32 v3, 8, v1
	v_lshlrev_b32_e32 v1, 25, v1
	v_lshrrev_b32_e32 v5, 4, v1
	v_and_or_b32 v7, v3, s6, 0.5
	v_or_b32_e32 v5, 0x70000000, v5
	v_add_f32_e32 v7, -0.5, v7
	v_mul_f32_e32 v5, 0x7800000, v5
	v_cmp_gt_u32_e32 vcc, s7, v1
	v_bfe_i32 v3, v3, 0, 16
	s_brev_b32 s6, 1
	v_cndmask_b32_e32 v1, v5, v7, vcc
	v_and_or_b32 v1, v3, s6, v1
.LBB19_1677:
	s_mov_b64 s[6:7], 0
	s_mov_b64 s[8:9], -1
.LBB19_1678:
	s_andn2_b64 vcc, exec, s[6:7]
	s_mov_b64 s[6:7], 0
	s_cbranch_vccnz .LBB19_1689
; %bb.1679:
	s_cmp_gt_i32 s14, 14
	s_cbranch_scc0 .LBB19_1682
; %bb.1680:
	s_cmp_eq_u32 s14, 15
	s_cbranch_scc0 .LBB19_1685
; %bb.1681:
	global_load_ushort v1, v[14:15], off
	s_mov_b64 s[0:1], 0
	s_mov_b64 s[8:9], -1
	s_waitcnt vmcnt(0)
	v_lshlrev_b32_e32 v1, 16, v1
	s_branch .LBB19_1686
.LBB19_1682:
	s_mov_b64 s[10:11], -1
                                        ; implicit-def: $vgpr1
	s_branch .LBB19_1687
.LBB19_1683:
	s_or_saveexec_b64 s[8:9], s[8:9]
	v_mov_b32_e32 v1, 0x7f800001
	s_xor_b64 exec, exec, s[8:9]
	s_cbranch_execz .LBB19_1664
.LBB19_1684:
	v_cmp_ne_u16_e32 vcc, 0, v3
	s_andn2_b64 s[6:7], s[6:7], exec
	s_and_b64 s[10:11], vcc, exec
	v_mov_b32_e32 v1, 0
	s_or_b64 s[6:7], s[6:7], s[10:11]
	s_or_b64 exec, exec, s[8:9]
	s_and_saveexec_b64 s[8:9], s[6:7]
	s_cbranch_execnz .LBB19_1665
	s_branch .LBB19_1666
.LBB19_1685:
	s_mov_b64 s[0:1], -1
                                        ; implicit-def: $vgpr1
.LBB19_1686:
	s_mov_b64 s[10:11], 0
.LBB19_1687:
	s_and_b64 vcc, exec, s[10:11]
	s_cbranch_vccz .LBB19_1689
; %bb.1688:
	s_cmp_lg_u32 s14, 11
	s_mov_b64 s[6:7], -1
	s_cselect_b64 s[0:1], -1, 0
.LBB19_1689:
	s_and_b64 vcc, exec, s[0:1]
	s_cbranch_vccnz .LBB19_2236
; %bb.1690:
	s_andn2_b64 vcc, exec, s[6:7]
	s_cbranch_vccnz .LBB19_1692
.LBB19_1691:
	global_load_ubyte v1, v[14:15], off
	s_mov_b64 s[8:9], -1
	s_waitcnt vmcnt(0)
	v_cmp_ne_u16_e32 vcc, 0, v1
	s_nop 1
	v_cndmask_b32_e64 v1, 0, 1.0, vcc
.LBB19_1692:
	s_mov_b64 s[0:1], 0
.LBB19_1693:
	s_and_b64 vcc, exec, s[0:1]
	s_cbranch_vccz .LBB19_1742
; %bb.1694:
	s_and_b32 s6, 0xffff, s17
	s_cmp_lt_i32 s6, 5
	s_cbranch_scc1 .LBB19_1699
; %bb.1695:
	s_cmp_lt_i32 s6, 8
	s_cbranch_scc1 .LBB19_1700
; %bb.1696:
	;; [unrolled: 3-line block ×3, first 2 shown]
	s_cmp_gt_i32 s6, 9
	s_cbranch_scc0 .LBB19_1702
; %bb.1698:
	global_load_dwordx2 v[16:17], v[14:15], off
	s_mov_b64 s[0:1], 0
	s_waitcnt vmcnt(0)
	v_cvt_f32_f64_e32 v1, v[16:17]
	s_branch .LBB19_1703
.LBB19_1699:
	s_mov_b64 s[0:1], -1
                                        ; implicit-def: $vgpr1
	s_branch .LBB19_1721
.LBB19_1700:
	s_mov_b64 s[0:1], -1
                                        ; implicit-def: $vgpr1
	s_branch .LBB19_1709
.LBB19_1701:
	s_mov_b64 s[0:1], -1
                                        ; implicit-def: $vgpr1
	s_branch .LBB19_1706
.LBB19_1702:
	s_mov_b64 s[0:1], -1
                                        ; implicit-def: $vgpr1
.LBB19_1703:
	s_andn2_b64 vcc, exec, s[0:1]
	s_cbranch_vccnz .LBB19_1705
; %bb.1704:
	global_load_dword v1, v[14:15], off
.LBB19_1705:
	s_mov_b64 s[0:1], 0
.LBB19_1706:
	s_andn2_b64 vcc, exec, s[0:1]
	s_cbranch_vccnz .LBB19_1708
; %bb.1707:
	global_load_dword v1, v[14:15], off
	s_waitcnt vmcnt(0)
	v_cvt_f32_f16_e32 v1, v1
.LBB19_1708:
	s_mov_b64 s[0:1], 0
.LBB19_1709:
	s_andn2_b64 vcc, exec, s[0:1]
	s_cbranch_vccnz .LBB19_1720
; %bb.1710:
	s_cmp_lt_i32 s6, 6
	s_cbranch_scc1 .LBB19_1713
; %bb.1711:
	s_cmp_gt_i32 s6, 6
	s_cbranch_scc0 .LBB19_1714
; %bb.1712:
	global_load_dwordx2 v[16:17], v[14:15], off
	s_mov_b64 s[0:1], 0
	s_waitcnt vmcnt(0)
	v_cvt_f32_f64_e32 v1, v[16:17]
	s_branch .LBB19_1715
.LBB19_1713:
	s_mov_b64 s[0:1], -1
                                        ; implicit-def: $vgpr1
	s_branch .LBB19_1718
.LBB19_1714:
	s_mov_b64 s[0:1], -1
                                        ; implicit-def: $vgpr1
.LBB19_1715:
	s_andn2_b64 vcc, exec, s[0:1]
	s_cbranch_vccnz .LBB19_1717
; %bb.1716:
	global_load_dword v1, v[14:15], off
.LBB19_1717:
	s_mov_b64 s[0:1], 0
.LBB19_1718:
	s_andn2_b64 vcc, exec, s[0:1]
	s_cbranch_vccnz .LBB19_1720
; %bb.1719:
	global_load_ushort v1, v[14:15], off
	s_waitcnt vmcnt(0)
	v_cvt_f32_f16_e32 v1, v1
.LBB19_1720:
	s_mov_b64 s[0:1], 0
.LBB19_1721:
	s_andn2_b64 vcc, exec, s[0:1]
	s_cbranch_vccnz .LBB19_1741
; %bb.1722:
	s_cmp_lt_i32 s6, 2
	s_cbranch_scc1 .LBB19_1726
; %bb.1723:
	s_cmp_lt_i32 s6, 3
	s_cbranch_scc1 .LBB19_1727
; %bb.1724:
	s_cmp_gt_i32 s6, 3
	s_cbranch_scc0 .LBB19_1728
; %bb.1725:
	global_load_dwordx2 v[16:17], v[14:15], off
	s_mov_b64 s[0:1], 0
	s_waitcnt vmcnt(0)
	v_xor_b32_e32 v3, v16, v17
	v_ffbh_i32_e32 v1, v17
	v_ashrrev_i32_e32 v3, 31, v3
	v_add_u32_e32 v1, -1, v1
	v_add_u32_e32 v3, 32, v3
	v_min_u32_e32 v1, v1, v3
	v_lshlrev_b64 v[16:17], v1, v[16:17]
	v_min_u32_e32 v3, 1, v16
	v_or_b32_e32 v3, v17, v3
	v_cvt_f32_i32_e32 v3, v3
	v_sub_u32_e32 v1, 32, v1
	v_ldexp_f32 v1, v3, v1
	s_branch .LBB19_1729
.LBB19_1726:
	s_mov_b64 s[0:1], -1
                                        ; implicit-def: $vgpr1
	s_branch .LBB19_1735
.LBB19_1727:
	s_mov_b64 s[0:1], -1
                                        ; implicit-def: $vgpr1
	s_branch .LBB19_1732
.LBB19_1728:
	s_mov_b64 s[0:1], -1
                                        ; implicit-def: $vgpr1
.LBB19_1729:
	s_andn2_b64 vcc, exec, s[0:1]
	s_cbranch_vccnz .LBB19_1731
; %bb.1730:
	global_load_dword v1, v[14:15], off
	s_waitcnt vmcnt(0)
	v_cvt_f32_i32_e32 v1, v1
.LBB19_1731:
	s_mov_b64 s[0:1], 0
.LBB19_1732:
	s_andn2_b64 vcc, exec, s[0:1]
	s_cbranch_vccnz .LBB19_1734
; %bb.1733:
	global_load_sshort v1, v[14:15], off
	s_waitcnt vmcnt(0)
	v_cvt_f32_i32_e32 v1, v1
.LBB19_1734:
	s_mov_b64 s[0:1], 0
.LBB19_1735:
	s_andn2_b64 vcc, exec, s[0:1]
	s_cbranch_vccnz .LBB19_1741
; %bb.1736:
	s_cmp_gt_i32 s6, 0
	s_cbranch_scc0 .LBB19_1738
; %bb.1737:
	global_load_sbyte v1, v[14:15], off
	s_mov_b64 s[0:1], 0
	s_waitcnt vmcnt(0)
	v_cvt_f32_i32_e32 v1, v1
	s_branch .LBB19_1739
.LBB19_1738:
	s_mov_b64 s[0:1], -1
                                        ; implicit-def: $vgpr1
.LBB19_1739:
	s_andn2_b64 vcc, exec, s[0:1]
	s_cbranch_vccnz .LBB19_1741
; %bb.1740:
	global_load_ubyte v1, v[14:15], off
	s_waitcnt vmcnt(0)
	v_cvt_f32_ubyte0_e32 v1, v1
.LBB19_1741:
	s_mov_b64 s[8:9], -1
.LBB19_1742:
	s_andn2_b64 vcc, exec, s[8:9]
	s_cbranch_vccnz .LBB19_1833
; %bb.1743:
	s_mov_b32 s0, 0x41000000
	s_waitcnt vmcnt(0)
	v_cmp_le_f32_e64 s[0:1], |v1|, s0
                                        ; implicit-def: $vgpr14
	s_and_saveexec_b64 s[6:7], s[0:1]
	s_xor_b64 s[6:7], exec, s[6:7]
	s_cbranch_execz .LBB19_1749
; %bb.1744:
	v_fma_f32 v3, |v1|, 0.5, -2.0
	v_mov_b32_e32 v5, 0xa3c2be86
	v_fmac_f32_e32 v5, 0x224cf950, v3
	v_fmaak_f32 v7, v3, v5, 0xa24cf950
	v_add_f32_e32 v7, 0x25331f1f, v7
	v_fma_f32 v5, v3, v7, -v5
	v_add_f32_e32 v5, 0xa69f5554, v5
	v_fma_f32 v7, v3, v5, -v7
	v_add_f32_e32 v7, 0x2808ebf8, v7
	v_fma_f32 v5, v3, v7, -v5
	v_add_f32_e32 v5, 0xa9631471, v5
	v_fma_f32 v7, v3, v5, -v7
	v_add_f32_e32 v7, 0x2ab57bc2, v7
	v_fma_f32 v5, v3, v7, -v5
	v_add_f32_e32 v5, 0xac0b9c1b, v5
	v_fma_f32 v7, v3, v5, -v7
	v_add_f32_e32 v7, 0x2d4e7716, v7
	v_fma_f32 v5, v3, v7, -v5
	v_add_f32_e32 v5, 0xae92881d, v5
	v_fma_f32 v7, v3, v5, -v7
	v_add_f32_e32 v7, 0x2fc751a6, v7
	v_fma_f32 v5, v3, v7, -v5
	v_add_f32_e32 v5, 0xb101b0d9, v5
	v_fma_f32 v7, v3, v5, -v7
	v_add_f32_e32 v7, 0x32212c70, v7
	v_fma_f32 v5, v3, v7, -v5
	v_add_f32_e32 v5, 0xb33ee9f1, v5
	v_fma_f32 v7, v3, v5, -v7
	v_add_f32_e32 v7, 0x34571a26, v7
	v_fma_f32 v5, v3, v7, -v5
	v_add_f32_e32 v5, 0xb56603cc, v5
	v_fma_f32 v7, v3, v5, -v7
	v_add_f32_e32 v7, 0x3668e277, v7
	v_fma_f32 v5, v3, v7, -v5
	v_add_f32_e32 v5, 0xb75eafce, v5
	v_fma_f32 v7, v3, v5, -v7
	v_add_f32_e32 v7, 0x38488daa, v7
	v_fma_f32 v5, v3, v7, -v5
	v_add_f32_e32 v5, 0xb9299e57, v5
	v_fma_f32 v7, v3, v5, -v7
	v_add_f32_e32 v7, 0x3a064aee, v7
	v_fma_f32 v5, v3, v7, -v5
	v_add_f32_e32 v5, 0xbac66310, v5
	v_fma_f32 v7, v3, v5, -v7
	v_add_f32_e32 v7, 0x3b88329a, v7
	v_fma_f32 v5, v3, v7, -v5
	v_add_f32_e32 v5, 0xbc2d14fc, v5
	v_fma_f32 v7, v3, v5, -v7
	v_add_f32_e32 v7, 0x3cca8f1f, v7
	v_fma_f32 v5, v3, v7, -v5
	v_add_f32_e32 v5, 0xbd58dde3, v5
	v_fma_f32 v7, v3, v5, -v7
	v_add_f32_e32 v7, 0x3dd236d7, v7
	v_fma_f32 v5, v3, v7, -v5
	v_add_f32_e32 v5, 0xbe34a688, v5
	s_mov_b32 s0, 0x3fb8aa3b
	v_fma_f32 v3, v3, v5, -v7
	v_mul_f32_e64 v5, |v1|, s0
	v_rndne_f32_e32 v9, v5
	v_sub_f32_e32 v11, v5, v9
	v_fma_f32 v5, |v1|, s0, -v5
	s_mov_b32 s0, 0x32a5705f
	v_fma_f32 v5, |v1|, s0, v5
	v_add_f32_e32 v5, v11, v5
	v_exp_f32_e32 v5, v5
	v_cvt_i32_f32_e32 v9, v9
	s_mov_b32 s0, 0xc2ce8ed0
	v_add_f32_e32 v3, 0x3e81531c, v3
	v_cmp_nlt_f32_e64 s[0:1], |v1|, s0
	v_ldexp_f32 v5, v5, v9
	v_sub_f32_e32 v3, v3, v7
	v_cndmask_b32_e64 v5, 0, v5, s[0:1]
	s_mov_b32 s0, 0x42b17218
	v_mul_f32_e32 v3, 0.5, v3
	v_mov_b32_e32 v7, 0x7f800000
	v_cmp_ngt_f32_e64 s[0:1], |v1|, s0
	v_cmp_ngt_f32_e32 vcc, 0, v1
	v_mul_f32_e64 v3, |v1|, v3
	v_cndmask_b32_e64 v1, v7, v5, s[0:1]
                                        ; implicit-def: $vgpr14
	s_and_saveexec_b64 s[0:1], vcc
	s_xor_b64 s[0:1], exec, s[0:1]
; %bb.1745:
	v_mul_f32_e32 v14, v1, v3
                                        ; implicit-def: $vgpr1
                                        ; implicit-def: $vgpr3
; %bb.1746:
	s_andn2_saveexec_b64 s[0:1], s[0:1]
; %bb.1747:
	v_mul_f32_e64 v14, v3, -v1
; %bb.1748:
	s_or_b64 exec, exec, s[0:1]
                                        ; implicit-def: $vgpr1
.LBB19_1749:
	s_andn2_saveexec_b64 s[6:7], s[6:7]
	s_cbranch_execz .LBB19_1755
; %bb.1750:
	v_and_b32_e32 v3, 0x7fffffff, v1
	s_mov_b32 s8, 0x42000000
	v_div_scale_f32 v5, s[0:1], v3, v3, s8
	v_rcp_f32_e32 v7, v5
	v_div_scale_f32 v3, vcc, s8, v3, s8
	s_mov_b32 s0, 0x3fb8aa3b
	v_fma_f32 v9, -v5, v7, 1.0
	v_fmac_f32_e32 v7, v9, v7
	v_mul_f32_e32 v9, v3, v7
	v_fma_f32 v11, -v5, v9, v3
	v_fmac_f32_e32 v9, v11, v7
	v_fma_f32 v3, -v5, v9, v3
	v_div_fmas_f32 v3, v3, v7, v9
	v_div_fixup_f32 v3, v3, |v1|, s8
	v_add_f32_e32 v3, -2.0, v3
	v_mov_b32_e32 v5, 0x22a2dc57
	v_fmac_f32_e32 v5, 0x230aab6e, v3
	v_fmaak_f32 v7, v3, v5, 0xa30aab6e
	v_add_f32_e32 v7, 0xa456751e, v7
	v_fma_f32 v5, v3, v7, -v5
	v_add_f32_e32 v5, 0xa4140365, v5
	v_fma_f32 v7, v3, v5, -v7
	;; [unrolled: 2-line block ×18, first 2 shown]
	v_mul_f32_e64 v9, |v1|, s0
	v_add_f32_e32 v7, 0xb486dfe9, v7
	v_rndne_f32_e32 v11, v9
	v_fma_f32 v5, v3, v7, -v5
	v_sub_f32_e32 v13, v9, v11
	v_fma_f32 v9, |v1|, s0, -v9
	s_mov_b32 s0, 0x32a5705f
	v_add_f32_e32 v5, 0xb68246fa, v5
	v_fma_f32 v9, |v1|, s0, v9
	v_fma_f32 v7, v3, v5, -v7
	v_add_f32_e32 v9, v13, v9
	v_add_f32_e32 v7, 0xb8e7ebfc, v7
	v_exp_f32_e32 v9, v9
	v_cvt_i32_f32_e32 v11, v11
	v_fma_f32 v5, v3, v7, -v5
	v_add_f32_e32 v5, 0xbc1fed03, v5
	v_fma_f32 v3, v3, v5, -v7
	s_mov_b32 s0, 0xc2ce8ed0
	v_add_f32_e32 v5, 0x3f4750c6, v3
	v_ldexp_f32 v3, v9, v11
	v_cmp_nlt_f32_e64 s[0:1], |v1|, s0
	v_mov_b32_e32 v9, 0x7f800000
	v_cmp_ngt_f32_e32 vcc, 0, v1
	v_cndmask_b32_e64 v3, 0, v3, s[0:1]
	s_mov_b32 s0, 0x42b17218
	v_cmp_ngt_f32_e64 s[0:1], |v1|, s0
	v_sub_f32_e32 v5, v5, v7
                                        ; implicit-def: $vgpr14
	s_nop 0
	v_cndmask_b32_e64 v3, v9, v3, s[0:1]
	s_and_saveexec_b64 s[0:1], vcc
	s_xor_b64 s[8:9], exec, s[0:1]
	s_cbranch_execz .LBB19_1752
; %bb.1751:
	s_mov_b32 s0, 0xf800000
	s_mov_b32 s1, 0x4f800000
	v_mul_f32_e64 v7, |v1|, s1
	v_cmp_lt_f32_e64 vcc, |v1|, s0
	v_mul_f32_e32 v5, 0.5, v5
	v_mul_f32_e32 v3, v3, v5
	v_cndmask_b32_e64 v1, |v1|, v7, vcc
	v_sqrt_f32_e32 v7, v1
	s_nop 0
	v_add_u32_e32 v5, -1, v7
	v_fma_f32 v9, -v5, v7, v1
	v_cmp_ge_f32_e64 s[0:1], 0, v9
	v_add_u32_e32 v9, 1, v7
	s_nop 0
	v_cndmask_b32_e64 v5, v7, v5, s[0:1]
	v_fma_f32 v7, -v9, v7, v1
	v_cmp_lt_f32_e64 s[0:1], 0, v7
	s_nop 1
	v_cndmask_b32_e64 v5, v5, v9, s[0:1]
	v_mul_f32_e32 v7, 0x37800000, v5
	v_cndmask_b32_e32 v5, v5, v7, vcc
	v_mov_b32_e32 v7, 0x260
	v_cmp_class_f32_e32 vcc, v1, v7
	s_nop 1
	v_cndmask_b32_e32 v1, v5, v1, vcc
	v_div_scale_f32 v5, s[0:1], v1, v1, v3
	v_rcp_f32_e32 v7, v5
	s_nop 0
	v_fma_f32 v9, -v5, v7, 1.0
	v_fmac_f32_e32 v7, v9, v7
	v_div_scale_f32 v9, vcc, v3, v1, v3
	v_mul_f32_e32 v11, v9, v7
	v_fma_f32 v13, -v5, v11, v9
	v_fmac_f32_e32 v11, v13, v7
	v_fma_f32 v5, -v5, v11, v9
	v_div_fmas_f32 v5, v5, v7, v11
	v_div_fixup_f32 v14, v5, v1, v3
                                        ; implicit-def: $vgpr1
                                        ; implicit-def: $vgpr5
                                        ; implicit-def: $vgpr3
.LBB19_1752:
	s_andn2_saveexec_b64 s[8:9], s[8:9]
	s_cbranch_execz .LBB19_1754
; %bb.1753:
	s_mov_b32 s0, 0xf800000
	s_mov_b32 s1, 0x4f800000
	v_mul_f32_e64 v7, |v1|, s1
	v_cmp_lt_f32_e64 vcc, |v1|, s0
	v_mul_f32_e32 v5, -0.5, v5
	v_mul_f32_e32 v3, v3, v5
	v_cndmask_b32_e64 v1, |v1|, v7, vcc
	v_sqrt_f32_e32 v7, v1
	s_nop 0
	v_add_u32_e32 v9, -1, v7
	v_fma_f32 v11, -v9, v7, v1
	v_cmp_ge_f32_e64 s[0:1], 0, v11
	v_add_u32_e32 v11, 1, v7
	s_nop 0
	v_cndmask_b32_e64 v9, v7, v9, s[0:1]
	v_fma_f32 v7, -v11, v7, v1
	v_cmp_lt_f32_e64 s[0:1], 0, v7
	s_nop 1
	v_cndmask_b32_e64 v7, v9, v11, s[0:1]
	v_mul_f32_e32 v9, 0x37800000, v7
	v_cndmask_b32_e32 v7, v7, v9, vcc
	v_mov_b32_e32 v9, 0x260
	v_cmp_class_f32_e32 vcc, v1, v9
	s_nop 1
	v_cndmask_b32_e32 v1, v7, v1, vcc
	v_div_scale_f32 v5, s[0:1], v1, v1, v3
	v_rcp_f32_e32 v7, v5
	s_nop 0
	v_fma_f32 v9, -v5, v7, 1.0
	v_fmac_f32_e32 v7, v9, v7
	v_div_scale_f32 v9, vcc, v3, v1, v3
	v_mul_f32_e32 v11, v9, v7
	v_fma_f32 v13, -v5, v11, v9
	v_fmac_f32_e32 v11, v13, v7
	v_fma_f32 v5, -v5, v11, v9
	v_div_fmas_f32 v5, v5, v7, v11
	v_div_fixup_f32 v14, v5, v1, v3
.LBB19_1754:
	s_or_b64 exec, exec, s[8:9]
.LBB19_1755:
	s_or_b64 exec, exec, s[6:7]
	s_bfe_u32 s14, s16, 0x80008
	v_mov_b32_e32 v7, 0
	s_cmp_lt_i32 s14, 11
	v_lshl_add_u64 v[6:7], s[4:5], 0, v[6:7]
	s_cbranch_scc1 .LBB19_1879
; %bb.1756:
	s_and_b32 s15, 0xffff, s14
	s_mov_b64 s[10:11], -1
	s_mov_b64 s[6:7], 0
	s_cmp_gt_i32 s15, 25
	s_mov_b64 s[8:9], 0
	s_mov_b64 s[0:1], 0
	s_cbranch_scc0 .LBB19_1789
; %bb.1757:
	s_cmp_gt_i32 s15, 28
	s_cbranch_scc0 .LBB19_1772
; %bb.1758:
	s_cmp_gt_i32 s15, 43
	;; [unrolled: 3-line block ×3, first 2 shown]
	s_cbranch_scc0 .LBB19_1762
; %bb.1760:
	s_mov_b64 s[0:1], -1
	s_mov_b64 s[10:11], 0
	s_cmp_eq_u32 s15, 46
	s_cbranch_scc0 .LBB19_1762
; %bb.1761:
	v_bfe_u32 v1, v8, 16, 1
	s_movk_i32 s0, 0x7fff
	v_add3_u32 v1, v8, v1, s0
	v_cmp_o_f32_e32 vcc, v8, v8
	v_mov_b32_e32 v3, 0x7fc0
	s_mov_b64 s[0:1], 0
	v_cndmask_b32_sdwa v1, v3, v1, vcc dst_sel:DWORD dst_unused:UNUSED_PAD src0_sel:DWORD src1_sel:WORD_1
	global_store_dword v[6:7], v1, off
	s_mov_b64 s[8:9], -1
.LBB19_1762:
	s_and_b64 vcc, exec, s[10:11]
	s_cbranch_vccz .LBB19_1767
; %bb.1763:
	s_cmp_eq_u32 s15, 44
	s_mov_b64 s[0:1], -1
	s_cbranch_scc0 .LBB19_1767
; %bb.1764:
	v_bfe_u32 v1, v8, 23, 8
	s_movk_i32 s0, 0xff
	v_cmp_ne_u32_e32 vcc, s0, v1
	v_mov_b32_e32 v3, 0xff
	s_and_saveexec_b64 s[8:9], vcc
; %bb.1765:
	s_mov_b32 s0, 0x3fffff
	v_and_b32_e32 v5, 0x400000, v8
	v_and_or_b32 v1, v8, s0, v1
	v_cmp_ne_u32_e32 vcc, 0, v5
	v_cmp_ne_u32_e64 s[0:1], 0, v1
	s_and_b64 s[0:1], vcc, s[0:1]
	v_lshrrev_b32_e32 v3, 23, v8
	v_cndmask_b32_e64 v1, 0, 1, s[0:1]
	v_add_u32_e32 v3, v3, v1
; %bb.1766:
	s_or_b64 exec, exec, s[8:9]
	s_mov_b64 s[0:1], 0
	s_mov_b64 s[8:9], -1
	global_store_byte v[6:7], v3, off
.LBB19_1767:
	s_mov_b64 s[10:11], 0
.LBB19_1768:
	s_and_b64 vcc, exec, s[10:11]
	s_cbranch_vccz .LBB19_1771
; %bb.1769:
	s_cmp_eq_u32 s15, 29
	s_mov_b64 s[0:1], -1
	s_cbranch_scc0 .LBB19_1771
; %bb.1770:
	v_trunc_f32_e32 v1, v8
	v_mul_f32_e32 v3, 0x2f800000, v1
	v_floor_f32_e32 v3, v3
	v_fmamk_f32 v1, v3, 0xcf800000, v1
	v_cvt_u32_f32_e32 v17, v3
	v_cvt_u32_f32_e32 v16, v1
	s_mov_b64 s[0:1], 0
	s_mov_b64 s[8:9], -1
	global_store_dwordx2 v[6:7], v[16:17], off
.LBB19_1771:
	s_mov_b64 s[10:11], 0
.LBB19_1772:
	s_and_b64 vcc, exec, s[10:11]
	s_cbranch_vccz .LBB19_1788
; %bb.1773:
	s_cmp_lt_i32 s15, 27
	s_mov_b64 s[8:9], -1
	s_cbranch_scc1 .LBB19_1779
; %bb.1774:
	v_cvt_u32_f32_e32 v1, v8
	s_cmp_gt_i32 s15, 27
	s_cbranch_scc0 .LBB19_1776
; %bb.1775:
	s_mov_b64 s[8:9], 0
	global_store_dword v[6:7], v1, off
.LBB19_1776:
	s_andn2_b64 vcc, exec, s[8:9]
	s_cbranch_vccnz .LBB19_1778
; %bb.1777:
	global_store_short v[6:7], v1, off
.LBB19_1778:
	s_mov_b64 s[8:9], 0
.LBB19_1779:
	s_andn2_b64 vcc, exec, s[8:9]
	s_cbranch_vccnz .LBB19_1787
; %bb.1780:
	v_and_b32_e32 v1, 0x7fffffff, v8
	s_mov_b32 s8, 0x43800000
	v_cmp_gt_u32_e32 vcc, s8, v1
	v_mov_b32_e32 v3, 0x80
	s_and_saveexec_b64 s[8:9], vcc
	s_cbranch_execz .LBB19_1786
; %bb.1781:
	s_mov_b32 s10, 0x3bffffff
	v_cmp_lt_u32_e32 vcc, s10, v1
	s_mov_b64 s[10:11], 0
                                        ; implicit-def: $vgpr1
	s_and_saveexec_b64 s[12:13], vcc
	s_xor_b64 s[12:13], exec, s[12:13]
	s_cbranch_execz .LBB19_2237
; %bb.1782:
	v_bfe_u32 v1, v8, 20, 1
	s_mov_b32 s17, 0x487ffff
	v_add3_u32 v1, v8, v1, s17
	s_mov_b64 s[10:11], exec
	v_lshrrev_b32_e32 v1, 20, v1
	s_andn2_saveexec_b64 s[12:13], s[12:13]
	s_cbranch_execnz .LBB19_2238
.LBB19_1783:
	s_or_b64 exec, exec, s[12:13]
	v_mov_b32_e32 v3, 0
	s_and_saveexec_b64 s[12:13], s[10:11]
.LBB19_1784:
	v_lshrrev_b32_e32 v3, 24, v8
	s_movk_i32 s10, 0x80
	v_and_or_b32 v3, v3, s10, v1
.LBB19_1785:
	s_or_b64 exec, exec, s[12:13]
.LBB19_1786:
	s_or_b64 exec, exec, s[8:9]
	global_store_byte v[6:7], v3, off
.LBB19_1787:
	s_mov_b64 s[8:9], -1
.LBB19_1788:
	s_mov_b64 s[10:11], 0
.LBB19_1789:
	s_and_b64 vcc, exec, s[10:11]
	s_cbranch_vccz .LBB19_1829
; %bb.1790:
	s_cmp_gt_i32 s15, 22
	s_mov_b64 s[6:7], -1
	s_cbranch_scc0 .LBB19_1822
; %bb.1791:
	s_cmp_lt_i32 s15, 24
	s_cbranch_scc1 .LBB19_1811
; %bb.1792:
	s_cmp_gt_i32 s15, 24
	s_cbranch_scc0 .LBB19_1800
; %bb.1793:
	v_and_b32_e32 v1, 0x7fffffff, v8
	s_mov_b32 s6, 0x47800000
	v_cmp_gt_u32_e32 vcc, s6, v1
	v_mov_b32_e32 v3, 0x80
	s_and_saveexec_b64 s[6:7], vcc
	s_cbranch_execz .LBB19_1799
; %bb.1794:
	s_mov_b32 s8, 0x37ffffff
	v_cmp_lt_u32_e32 vcc, s8, v1
	s_mov_b64 s[8:9], 0
                                        ; implicit-def: $vgpr1
	s_and_saveexec_b64 s[10:11], vcc
	s_xor_b64 s[10:11], exec, s[10:11]
	s_cbranch_execz .LBB19_2240
; %bb.1795:
	v_bfe_u32 v1, v8, 21, 1
	s_mov_b32 s12, 0x88fffff
	v_add3_u32 v1, v8, v1, s12
	s_mov_b64 s[8:9], exec
	v_lshrrev_b32_e32 v1, 21, v1
	s_andn2_saveexec_b64 s[10:11], s[10:11]
	s_cbranch_execnz .LBB19_2241
.LBB19_1796:
	s_or_b64 exec, exec, s[10:11]
	v_mov_b32_e32 v3, 0
	s_and_saveexec_b64 s[10:11], s[8:9]
.LBB19_1797:
	v_lshrrev_b32_e32 v3, 24, v8
	s_movk_i32 s8, 0x80
	v_and_or_b32 v3, v3, s8, v1
.LBB19_1798:
	s_or_b64 exec, exec, s[10:11]
.LBB19_1799:
	s_or_b64 exec, exec, s[6:7]
	s_mov_b64 s[6:7], 0
	global_store_byte v[6:7], v3, off
.LBB19_1800:
	s_and_b64 vcc, exec, s[6:7]
	s_cbranch_vccz .LBB19_1810
; %bb.1801:
	v_and_b32_e32 v3, 0x7fffffff, v8
	s_mov_b32 s6, 0x43f00000
	v_cmp_gt_u32_e32 vcc, s6, v3
                                        ; implicit-def: $vgpr1
	s_and_saveexec_b64 s[6:7], vcc
	s_xor_b64 s[6:7], exec, s[6:7]
	s_cbranch_execz .LBB19_1807
; %bb.1802:
	s_mov_b32 s8, 0x3c7fffff
	v_cmp_lt_u32_e32 vcc, s8, v3
                                        ; implicit-def: $vgpr1
	s_and_saveexec_b64 s[8:9], vcc
	s_xor_b64 s[8:9], exec, s[8:9]
; %bb.1803:
	v_bfe_u32 v1, v8, 20, 1
	s_mov_b32 s10, 0x407ffff
	v_add3_u32 v1, v8, v1, s10
	v_lshrrev_b32_e32 v3, 20, v1
	v_and_b32_e32 v1, 0xff00000, v1
	s_mov_b32 s10, 0x7f00000
	v_mov_b32_e32 v5, 0x7e
	v_cmp_ne_u32_e32 vcc, s10, v1
	s_nop 1
	v_cndmask_b32_e32 v1, v5, v3, vcc
; %bb.1804:
	s_andn2_saveexec_b64 s[8:9], s[8:9]
; %bb.1805:
	s_mov_b32 s10, 0x46800000
	v_add_f32_e64 v1, |v8|, s10
; %bb.1806:
	s_or_b64 exec, exec, s[8:9]
                                        ; implicit-def: $vgpr3
.LBB19_1807:
	s_andn2_saveexec_b64 s[6:7], s[6:7]
; %bb.1808:
	s_mov_b32 s8, 0x7f800000
	v_mov_b32_e32 v1, 0x7e
	v_mov_b32_e32 v5, 0x7f
	v_cmp_lt_u32_e32 vcc, s8, v3
	s_nop 1
	v_cndmask_b32_e32 v1, v1, v5, vcc
; %bb.1809:
	s_or_b64 exec, exec, s[6:7]
	v_lshrrev_b32_e32 v3, 24, v8
	s_movk_i32 s6, 0x80
	v_and_or_b32 v1, v3, s6, v1
	global_store_byte v[6:7], v1, off
.LBB19_1810:
	s_mov_b64 s[6:7], 0
.LBB19_1811:
	s_andn2_b64 vcc, exec, s[6:7]
	s_cbranch_vccnz .LBB19_1821
; %bb.1812:
	v_and_b32_e32 v3, 0x7fffffff, v8
	s_mov_b32 s6, 0x47800000
	v_cmp_gt_u32_e32 vcc, s6, v3
                                        ; implicit-def: $vgpr1
	s_and_saveexec_b64 s[6:7], vcc
	s_xor_b64 s[6:7], exec, s[6:7]
	s_cbranch_execz .LBB19_1818
; %bb.1813:
	s_mov_b32 s8, 0x387fffff
	v_cmp_lt_u32_e32 vcc, s8, v3
                                        ; implicit-def: $vgpr1
	s_and_saveexec_b64 s[8:9], vcc
	s_xor_b64 s[8:9], exec, s[8:9]
; %bb.1814:
	v_bfe_u32 v1, v8, 21, 1
	s_mov_b32 s10, 0x80fffff
	v_add3_u32 v1, v8, v1, s10
	v_lshrrev_b32_e32 v1, 21, v1
; %bb.1815:
	s_andn2_saveexec_b64 s[8:9], s[8:9]
; %bb.1816:
	s_mov_b32 s10, 0x43000000
	v_add_f32_e64 v1, |v8|, s10
; %bb.1817:
	s_or_b64 exec, exec, s[8:9]
                                        ; implicit-def: $vgpr3
.LBB19_1818:
	s_andn2_saveexec_b64 s[6:7], s[6:7]
; %bb.1819:
	s_mov_b32 s8, 0x7f800000
	v_mov_b32_e32 v1, 0x7c
	v_mov_b32_e32 v5, 0x7f
	v_cmp_lt_u32_e32 vcc, s8, v3
	s_nop 1
	v_cndmask_b32_e32 v1, v1, v5, vcc
; %bb.1820:
	s_or_b64 exec, exec, s[6:7]
	v_lshrrev_b32_e32 v3, 24, v8
	s_movk_i32 s6, 0x80
	v_and_or_b32 v1, v3, s6, v1
	global_store_byte v[6:7], v1, off
.LBB19_1821:
	s_mov_b64 s[6:7], 0
	s_mov_b64 s[8:9], -1
.LBB19_1822:
	s_andn2_b64 vcc, exec, s[6:7]
	s_mov_b64 s[6:7], 0
	s_cbranch_vccnz .LBB19_1829
; %bb.1823:
	s_cmp_gt_i32 s15, 14
	s_mov_b64 s[10:11], -1
	s_cbranch_scc0 .LBB19_1827
; %bb.1824:
	s_cmp_eq_u32 s15, 15
	s_mov_b64 s[0:1], -1
	s_cbranch_scc0 .LBB19_1826
; %bb.1825:
	v_bfe_u32 v1, v8, 16, 1
	s_movk_i32 s0, 0x7fff
	v_add3_u32 v1, v8, v1, s0
	v_cmp_o_f32_e32 vcc, v8, v8
	v_mov_b32_e32 v3, 0x7fc0
	s_mov_b64 s[0:1], 0
	v_cndmask_b32_sdwa v1, v3, v1, vcc dst_sel:DWORD dst_unused:UNUSED_PAD src0_sel:DWORD src1_sel:WORD_1
	global_store_short v[6:7], v1, off
	s_mov_b64 s[8:9], -1
.LBB19_1826:
	s_mov_b64 s[10:11], 0
.LBB19_1827:
	s_and_b64 vcc, exec, s[10:11]
	s_cbranch_vccz .LBB19_1829
; %bb.1828:
	s_cmp_lg_u32 s15, 11
	s_mov_b64 s[6:7], -1
	s_cselect_b64 s[0:1], -1, 0
.LBB19_1829:
	s_and_b64 vcc, exec, s[0:1]
	s_cbranch_vccnz .LBB19_2239
; %bb.1830:
	s_andn2_b64 vcc, exec, s[6:7]
	s_cbranch_vccnz .LBB19_1832
.LBB19_1831:
	v_cmp_neq_f32_e32 vcc, 0, v8
	s_mov_b64 s[8:9], -1
	s_nop 0
	v_cndmask_b32_e64 v1, 0, 1, vcc
	global_store_byte v[6:7], v1, off
.LBB19_1832:
	s_mov_b64 s[0:1], 0
	s_branch .LBB19_1880
.LBB19_1833:
	s_mov_b64 s[0:1], 0
                                        ; implicit-def: $vgpr0_vgpr1
                                        ; implicit-def: $sgpr14
                                        ; implicit-def: $vgpr14
.LBB19_1834:
	s_mov_b64 s[4:5], 0
.LBB19_1835:
	s_and_b64 s[6:7], s[0:1], exec
	s_andn2_b64 s[0:1], s[24:25], exec
	s_and_b64 s[2:3], s[2:3], exec
	s_and_b64 s[40:41], s[4:5], exec
	s_or_b64 s[24:25], s[0:1], s[2:3]
.LBB19_1836:
	s_or_b64 exec, exec, s[26:27]
	s_and_saveexec_b64 s[0:1], s[24:25]
	s_cbranch_execz .LBB19_1839
; %bb.1837:
	; divergent unreachable
	s_or_b64 exec, exec, s[0:1]
	s_and_saveexec_b64 s[0:1], s[40:41]
	s_xor_b64 s[0:1], exec, s[0:1]
	s_cbranch_execnz .LBB19_1840
.LBB19_1838:
	s_or_b64 exec, exec, s[0:1]
	s_and_saveexec_b64 s[0:1], s[6:7]
	s_cbranch_execnz .LBB19_1841
	s_branch .LBB19_1878
.LBB19_1839:
	s_or_b64 exec, exec, s[0:1]
	s_and_saveexec_b64 s[0:1], s[40:41]
	s_xor_b64 s[0:1], exec, s[0:1]
	s_cbranch_execz .LBB19_1838
.LBB19_1840:
	v_cmp_neq_f32_e32 vcc, 0, v14
	s_nop 1
	v_cndmask_b32_e64 v2, 0, 1, vcc
	s_waitcnt vmcnt(0)
	global_store_byte v[0:1], v2, off
	s_or_b64 exec, exec, s[0:1]
	s_and_saveexec_b64 s[0:1], s[6:7]
	s_cbranch_execz .LBB19_1878
.LBB19_1841:
	s_sext_i32_i16 s2, s14
	s_cmp_lt_i32 s2, 5
	s_mov_b64 s[0:1], -1
	s_cbranch_scc1 .LBB19_1862
; %bb.1842:
	s_cmp_lt_i32 s2, 8
	s_cbranch_scc1 .LBB19_1852
; %bb.1843:
	s_cmp_lt_i32 s2, 9
	s_cbranch_scc1 .LBB19_1849
; %bb.1844:
	s_cmp_gt_i32 s2, 9
	s_cbranch_scc0 .LBB19_1846
; %bb.1845:
	v_mov_b32_e32 v4, 0
	v_cvt_f64_f32_e32 v[2:3], v14
	v_mov_b32_e32 v5, v4
	s_waitcnt vmcnt(0)
	global_store_dwordx4 v[0:1], v[2:5], off
	s_mov_b64 s[0:1], 0
.LBB19_1846:
	s_andn2_b64 vcc, exec, s[0:1]
	s_cbranch_vccnz .LBB19_1848
; %bb.1847:
	v_mov_b32_e32 v15, 0
	s_waitcnt vmcnt(0)
	global_store_dwordx2 v[0:1], v[14:15], off
.LBB19_1848:
	s_mov_b64 s[0:1], 0
.LBB19_1849:
	s_andn2_b64 vcc, exec, s[0:1]
	s_cbranch_vccnz .LBB19_1851
; %bb.1850:
	v_cvt_f16_f32_e32 v2, v14
	s_waitcnt vmcnt(0)
	global_store_dword v[0:1], v2, off
.LBB19_1851:
	s_mov_b64 s[0:1], 0
.LBB19_1852:
	s_andn2_b64 vcc, exec, s[0:1]
	s_cbranch_vccnz .LBB19_1861
; %bb.1853:
	s_sext_i32_i16 s2, s14
	s_cmp_lt_i32 s2, 6
	s_mov_b64 s[0:1], -1
	s_cbranch_scc1 .LBB19_1859
; %bb.1854:
	s_cmp_gt_i32 s2, 6
	s_cbranch_scc0 .LBB19_1856
; %bb.1855:
	v_cvt_f64_f32_e32 v[2:3], v14
	s_waitcnt vmcnt(0)
	global_store_dwordx2 v[0:1], v[2:3], off
	s_mov_b64 s[0:1], 0
.LBB19_1856:
	s_andn2_b64 vcc, exec, s[0:1]
	s_cbranch_vccnz .LBB19_1858
; %bb.1857:
	s_waitcnt vmcnt(0)
	global_store_dword v[0:1], v14, off
.LBB19_1858:
	s_mov_b64 s[0:1], 0
.LBB19_1859:
	s_andn2_b64 vcc, exec, s[0:1]
	s_cbranch_vccnz .LBB19_1861
; %bb.1860:
	v_cvt_f16_f32_e32 v2, v14
	s_waitcnt vmcnt(0)
	global_store_short v[0:1], v2, off
.LBB19_1861:
	s_mov_b64 s[0:1], 0
.LBB19_1862:
	s_andn2_b64 vcc, exec, s[0:1]
	s_cbranch_vccnz .LBB19_1878
; %bb.1863:
	s_sext_i32_i16 s2, s14
	s_cmp_lt_i32 s2, 2
	s_mov_b64 s[0:1], -1
	s_cbranch_scc1 .LBB19_1873
; %bb.1864:
	s_cmp_lt_i32 s2, 3
	s_cbranch_scc1 .LBB19_1870
; %bb.1865:
	s_cmp_gt_i32 s2, 3
	s_cbranch_scc0 .LBB19_1867
; %bb.1866:
	v_trunc_f32_e32 v2, v14
	s_mov_b32 s0, 0x2f800000
	v_mul_f32_e64 v3, |v2|, s0
	v_floor_f32_e32 v3, v3
	s_mov_b32 s0, 0xcf800000
	v_cvt_u32_f32_e32 v4, v3
	v_fma_f32 v3, v3, s0, |v2|
	v_cvt_u32_f32_e32 v3, v3
	v_ashrrev_i32_e32 v5, 31, v2
	v_xor_b32_e32 v4, v4, v5
	s_mov_b64 s[0:1], 0
	v_xor_b32_e32 v2, v3, v5
	v_sub_co_u32_e32 v2, vcc, v2, v5
	s_nop 1
	v_subb_co_u32_e32 v3, vcc, v4, v5, vcc
	s_waitcnt vmcnt(0)
	global_store_dwordx2 v[0:1], v[2:3], off
.LBB19_1867:
	s_andn2_b64 vcc, exec, s[0:1]
	s_cbranch_vccnz .LBB19_1869
; %bb.1868:
	v_cvt_i32_f32_e32 v2, v14
	s_waitcnt vmcnt(0)
	global_store_dword v[0:1], v2, off
.LBB19_1869:
	s_mov_b64 s[0:1], 0
.LBB19_1870:
	s_andn2_b64 vcc, exec, s[0:1]
	s_cbranch_vccnz .LBB19_1872
; %bb.1871:
	v_cvt_i32_f32_e32 v2, v14
	s_waitcnt vmcnt(0)
	global_store_short v[0:1], v2, off
.LBB19_1872:
	s_mov_b64 s[0:1], 0
.LBB19_1873:
	s_andn2_b64 vcc, exec, s[0:1]
	s_cbranch_vccnz .LBB19_1878
; %bb.1874:
	s_sext_i32_i16 s0, s14
	s_cmp_gt_i32 s0, 0
	s_mov_b64 s[0:1], -1
	s_cbranch_scc0 .LBB19_1876
; %bb.1875:
	v_cvt_i32_f32_e32 v2, v14
	s_mov_b64 s[0:1], 0
	s_waitcnt vmcnt(0)
	global_store_byte v[0:1], v2, off
.LBB19_1876:
	s_andn2_b64 vcc, exec, s[0:1]
	s_cbranch_vccnz .LBB19_1878
; %bb.1877:
	v_trunc_f32_e32 v2, v14
	s_mov_b32 s0, 0x2f800000
	v_mul_f32_e64 v3, |v2|, s0
	v_floor_f32_e32 v3, v3
	s_mov_b32 s0, 0xcf800000
	v_fma_f32 v3, v3, s0, |v2|
	v_cvt_u32_f32_e32 v3, v3
	v_ashrrev_i32_e32 v2, 31, v2
	v_xor_b32_e32 v3, v3, v2
	v_sub_u32_e32 v2, v3, v2
	s_waitcnt vmcnt(0)
	global_store_byte v[0:1], v2, off
	s_endpgm
.LBB19_1878:
	s_endpgm
.LBB19_1879:
	s_mov_b64 s[0:1], -1
	s_mov_b64 s[8:9], 0
.LBB19_1880:
	s_and_b64 vcc, exec, s[0:1]
	s_cbranch_vccz .LBB19_1919
; %bb.1881:
	s_and_b32 s6, 0xffff, s14
	s_cmp_lt_i32 s6, 5
	s_mov_b64 s[0:1], -1
	s_cbranch_scc1 .LBB19_1902
; %bb.1882:
	s_cmp_lt_i32 s6, 8
	s_cbranch_scc1 .LBB19_1892
; %bb.1883:
	s_cmp_lt_i32 s6, 9
	s_cbranch_scc1 .LBB19_1889
; %bb.1884:
	s_cmp_gt_i32 s6, 9
	s_cbranch_scc0 .LBB19_1886
; %bb.1885:
	v_mov_b32_e32 v18, 0
	v_cvt_f64_f32_e32 v[16:17], v8
	v_mov_b32_e32 v19, v18
	global_store_dwordx4 v[6:7], v[16:19], off
	s_mov_b64 s[0:1], 0
.LBB19_1886:
	s_andn2_b64 vcc, exec, s[0:1]
	s_cbranch_vccnz .LBB19_1888
; %bb.1887:
	v_mov_b32_e32 v9, 0
	global_store_dwordx2 v[6:7], v[8:9], off
.LBB19_1888:
	s_mov_b64 s[0:1], 0
.LBB19_1889:
	s_andn2_b64 vcc, exec, s[0:1]
	s_cbranch_vccnz .LBB19_1891
; %bb.1890:
	v_cvt_f16_f32_e32 v1, v8
	global_store_dword v[6:7], v1, off
.LBB19_1891:
	s_mov_b64 s[0:1], 0
.LBB19_1892:
	s_andn2_b64 vcc, exec, s[0:1]
	s_cbranch_vccnz .LBB19_1901
; %bb.1893:
	s_cmp_lt_i32 s6, 6
	s_mov_b64 s[0:1], -1
	s_cbranch_scc1 .LBB19_1899
; %bb.1894:
	s_cmp_gt_i32 s6, 6
	s_cbranch_scc0 .LBB19_1896
; %bb.1895:
	v_cvt_f64_f32_e32 v[16:17], v8
	global_store_dwordx2 v[6:7], v[16:17], off
	s_mov_b64 s[0:1], 0
.LBB19_1896:
	s_andn2_b64 vcc, exec, s[0:1]
	s_cbranch_vccnz .LBB19_1898
; %bb.1897:
	global_store_dword v[6:7], v8, off
.LBB19_1898:
	s_mov_b64 s[0:1], 0
.LBB19_1899:
	s_andn2_b64 vcc, exec, s[0:1]
	s_cbranch_vccnz .LBB19_1901
; %bb.1900:
	v_cvt_f16_f32_e32 v1, v8
	global_store_short v[6:7], v1, off
.LBB19_1901:
	s_mov_b64 s[0:1], 0
.LBB19_1902:
	s_andn2_b64 vcc, exec, s[0:1]
	s_cbranch_vccnz .LBB19_1918
; %bb.1903:
	s_cmp_lt_i32 s6, 2
	s_mov_b64 s[0:1], -1
	s_cbranch_scc1 .LBB19_1913
; %bb.1904:
	s_cmp_lt_i32 s6, 3
	s_cbranch_scc1 .LBB19_1910
; %bb.1905:
	s_cmp_gt_i32 s6, 3
	s_cbranch_scc0 .LBB19_1907
; %bb.1906:
	v_trunc_f32_e32 v1, v8
	s_mov_b32 s0, 0x2f800000
	v_mul_f32_e64 v3, |v1|, s0
	v_floor_f32_e32 v3, v3
	s_mov_b32 s0, 0xcf800000
	v_cvt_u32_f32_e32 v5, v3
	v_fma_f32 v3, v3, s0, |v1|
	v_cvt_u32_f32_e32 v3, v3
	v_ashrrev_i32_e32 v1, 31, v1
	v_xor_b32_e32 v5, v5, v1
	s_mov_b64 s[0:1], 0
	v_xor_b32_e32 v3, v3, v1
	v_sub_co_u32_e32 v16, vcc, v3, v1
	s_nop 1
	v_subb_co_u32_e32 v17, vcc, v5, v1, vcc
	global_store_dwordx2 v[6:7], v[16:17], off
.LBB19_1907:
	s_andn2_b64 vcc, exec, s[0:1]
	s_cbranch_vccnz .LBB19_1909
; %bb.1908:
	v_cvt_i32_f32_e32 v1, v8
	global_store_dword v[6:7], v1, off
.LBB19_1909:
	s_mov_b64 s[0:1], 0
.LBB19_1910:
	s_andn2_b64 vcc, exec, s[0:1]
	s_cbranch_vccnz .LBB19_1912
; %bb.1911:
	v_cvt_i32_f32_e32 v1, v8
	global_store_short v[6:7], v1, off
.LBB19_1912:
	s_mov_b64 s[0:1], 0
.LBB19_1913:
	s_andn2_b64 vcc, exec, s[0:1]
	s_cbranch_vccnz .LBB19_1918
; %bb.1914:
	s_cmp_gt_i32 s6, 0
	s_mov_b64 s[0:1], -1
	s_cbranch_scc0 .LBB19_1916
; %bb.1915:
	v_cvt_i32_f32_e32 v1, v8
	s_mov_b64 s[0:1], 0
	global_store_byte v[6:7], v1, off
.LBB19_1916:
	s_andn2_b64 vcc, exec, s[0:1]
	s_cbranch_vccnz .LBB19_1918
; %bb.1917:
	v_trunc_f32_e32 v1, v8
	s_mov_b32 s0, 0x2f800000
	v_mul_f32_e64 v3, |v1|, s0
	v_floor_f32_e32 v3, v3
	s_mov_b32 s0, 0xcf800000
	v_fma_f32 v3, v3, s0, |v1|
	v_cvt_u32_f32_e32 v3, v3
	v_ashrrev_i32_e32 v1, 31, v1
	v_xor_b32_e32 v3, v3, v1
	v_sub_u32_e32 v1, v3, v1
	global_store_byte v[6:7], v1, off
.LBB19_1918:
	s_mov_b64 s[8:9], -1
.LBB19_1919:
	s_andn2_b64 vcc, exec, s[8:9]
	s_cbranch_vccnz .LBB19_2234
; %bb.1920:
	s_lshr_b32 s0, s16, 8
	s_and_b32 s14, s0, 0xff
	v_mov_b32_e32 v5, 0
	s_cmp_lt_i32 s14, 11
	v_lshl_add_u64 v[4:5], s[4:5], 0, v[4:5]
	s_cbranch_scc1 .LBB19_1998
; %bb.1921:
	s_and_b32 s15, 0xffff, s14
	s_mov_b64 s[10:11], -1
	s_mov_b64 s[6:7], 0
	s_cmp_gt_i32 s15, 25
	s_mov_b64 s[8:9], 0
	s_mov_b64 s[0:1], 0
	s_cbranch_scc0 .LBB19_1954
; %bb.1922:
	s_cmp_gt_i32 s15, 28
	s_cbranch_scc0 .LBB19_1937
; %bb.1923:
	s_cmp_gt_i32 s15, 43
	s_cbranch_scc0 .LBB19_1933
; %bb.1924:
	s_cmp_gt_i32 s15, 45
	s_cbranch_scc0 .LBB19_1927
; %bb.1925:
	s_mov_b64 s[0:1], -1
	s_mov_b64 s[10:11], 0
	s_cmp_eq_u32 s15, 46
	s_cbranch_scc0 .LBB19_1927
; %bb.1926:
	v_bfe_u32 v1, v10, 16, 1
	s_movk_i32 s0, 0x7fff
	v_add3_u32 v1, v10, v1, s0
	v_cmp_o_f32_e32 vcc, v10, v10
	v_mov_b32_e32 v3, 0x7fc0
	s_mov_b64 s[0:1], 0
	v_cndmask_b32_sdwa v1, v3, v1, vcc dst_sel:DWORD dst_unused:UNUSED_PAD src0_sel:DWORD src1_sel:WORD_1
	global_store_dword v[4:5], v1, off
	s_mov_b64 s[8:9], -1
.LBB19_1927:
	s_and_b64 vcc, exec, s[10:11]
	s_cbranch_vccz .LBB19_1932
; %bb.1928:
	s_cmp_eq_u32 s15, 44
	s_mov_b64 s[0:1], -1
	s_cbranch_scc0 .LBB19_1932
; %bb.1929:
	v_bfe_u32 v1, v10, 23, 8
	s_movk_i32 s0, 0xff
	v_cmp_ne_u32_e32 vcc, s0, v1
	v_mov_b32_e32 v3, 0xff
	s_and_saveexec_b64 s[8:9], vcc
; %bb.1930:
	s_mov_b32 s0, 0x3fffff
	v_and_b32_e32 v6, 0x400000, v10
	v_and_or_b32 v1, v10, s0, v1
	v_cmp_ne_u32_e32 vcc, 0, v6
	v_cmp_ne_u32_e64 s[0:1], 0, v1
	s_and_b64 s[0:1], vcc, s[0:1]
	v_lshrrev_b32_e32 v3, 23, v10
	v_cndmask_b32_e64 v1, 0, 1, s[0:1]
	v_add_u32_e32 v3, v3, v1
; %bb.1931:
	s_or_b64 exec, exec, s[8:9]
	s_mov_b64 s[0:1], 0
	s_mov_b64 s[8:9], -1
	global_store_byte v[4:5], v3, off
.LBB19_1932:
	s_mov_b64 s[10:11], 0
.LBB19_1933:
	s_and_b64 vcc, exec, s[10:11]
	s_cbranch_vccz .LBB19_1936
; %bb.1934:
	s_cmp_eq_u32 s15, 29
	s_mov_b64 s[0:1], -1
	s_cbranch_scc0 .LBB19_1936
; %bb.1935:
	v_trunc_f32_e32 v1, v10
	v_mul_f32_e32 v3, 0x2f800000, v1
	v_floor_f32_e32 v3, v3
	v_fmamk_f32 v1, v3, 0xcf800000, v1
	v_cvt_u32_f32_e32 v7, v3
	v_cvt_u32_f32_e32 v6, v1
	s_mov_b64 s[0:1], 0
	s_mov_b64 s[8:9], -1
	global_store_dwordx2 v[4:5], v[6:7], off
.LBB19_1936:
	s_mov_b64 s[10:11], 0
.LBB19_1937:
	s_and_b64 vcc, exec, s[10:11]
	s_cbranch_vccz .LBB19_1953
; %bb.1938:
	s_cmp_lt_i32 s15, 27
	s_mov_b64 s[8:9], -1
	s_cbranch_scc1 .LBB19_1944
; %bb.1939:
	s_cmp_gt_i32 s15, 27
	s_cbranch_scc0 .LBB19_1941
; %bb.1940:
	v_cvt_u32_f32_e32 v1, v10
	s_mov_b64 s[8:9], 0
	global_store_dword v[4:5], v1, off
.LBB19_1941:
	s_andn2_b64 vcc, exec, s[8:9]
	s_cbranch_vccnz .LBB19_1943
; %bb.1942:
	v_cvt_u32_f32_e32 v1, v10
	global_store_short v[4:5], v1, off
.LBB19_1943:
	s_mov_b64 s[8:9], 0
.LBB19_1944:
	s_andn2_b64 vcc, exec, s[8:9]
	s_cbranch_vccnz .LBB19_1952
; %bb.1945:
	v_and_b32_e32 v1, 0x7fffffff, v10
	s_mov_b32 s8, 0x43800000
	v_cmp_gt_u32_e32 vcc, s8, v1
	v_mov_b32_e32 v3, 0x80
	s_and_saveexec_b64 s[8:9], vcc
	s_cbranch_execz .LBB19_1951
; %bb.1946:
	s_mov_b32 s10, 0x3bffffff
	v_cmp_lt_u32_e32 vcc, s10, v1
	s_mov_b64 s[10:11], 0
                                        ; implicit-def: $vgpr1
	s_and_saveexec_b64 s[12:13], vcc
	s_xor_b64 s[12:13], exec, s[12:13]
	s_cbranch_execz .LBB19_2242
; %bb.1947:
	v_bfe_u32 v1, v10, 20, 1
	s_mov_b32 s16, 0x487ffff
	v_add3_u32 v1, v10, v1, s16
	s_mov_b64 s[10:11], exec
	v_lshrrev_b32_e32 v1, 20, v1
	s_andn2_saveexec_b64 s[12:13], s[12:13]
	s_cbranch_execnz .LBB19_2243
.LBB19_1948:
	s_or_b64 exec, exec, s[12:13]
	v_mov_b32_e32 v3, 0
	s_and_saveexec_b64 s[12:13], s[10:11]
.LBB19_1949:
	v_lshrrev_b32_e32 v3, 24, v10
	s_movk_i32 s10, 0x80
	v_and_or_b32 v3, v3, s10, v1
.LBB19_1950:
	s_or_b64 exec, exec, s[12:13]
.LBB19_1951:
	s_or_b64 exec, exec, s[8:9]
	global_store_byte v[4:5], v3, off
.LBB19_1952:
	s_mov_b64 s[8:9], -1
.LBB19_1953:
	s_mov_b64 s[10:11], 0
.LBB19_1954:
	s_and_b64 vcc, exec, s[10:11]
	s_cbranch_vccz .LBB19_1994
; %bb.1955:
	s_cmp_gt_i32 s15, 22
	s_mov_b64 s[6:7], -1
	s_cbranch_scc0 .LBB19_1987
; %bb.1956:
	s_cmp_lt_i32 s15, 24
	s_cbranch_scc1 .LBB19_1976
; %bb.1957:
	s_cmp_gt_i32 s15, 24
	s_cbranch_scc0 .LBB19_1965
; %bb.1958:
	v_and_b32_e32 v1, 0x7fffffff, v10
	s_mov_b32 s6, 0x47800000
	v_cmp_gt_u32_e32 vcc, s6, v1
	v_mov_b32_e32 v3, 0x80
	s_and_saveexec_b64 s[6:7], vcc
	s_cbranch_execz .LBB19_1964
; %bb.1959:
	s_mov_b32 s8, 0x37ffffff
	v_cmp_lt_u32_e32 vcc, s8, v1
	s_mov_b64 s[8:9], 0
                                        ; implicit-def: $vgpr1
	s_and_saveexec_b64 s[10:11], vcc
	s_xor_b64 s[10:11], exec, s[10:11]
	s_cbranch_execz .LBB19_2245
; %bb.1960:
	v_bfe_u32 v1, v10, 21, 1
	s_mov_b32 s12, 0x88fffff
	v_add3_u32 v1, v10, v1, s12
	s_mov_b64 s[8:9], exec
	v_lshrrev_b32_e32 v1, 21, v1
	s_andn2_saveexec_b64 s[10:11], s[10:11]
	s_cbranch_execnz .LBB19_2246
.LBB19_1961:
	s_or_b64 exec, exec, s[10:11]
	v_mov_b32_e32 v3, 0
	s_and_saveexec_b64 s[10:11], s[8:9]
.LBB19_1962:
	v_lshrrev_b32_e32 v3, 24, v10
	s_movk_i32 s8, 0x80
	v_and_or_b32 v3, v3, s8, v1
.LBB19_1963:
	s_or_b64 exec, exec, s[10:11]
.LBB19_1964:
	s_or_b64 exec, exec, s[6:7]
	s_mov_b64 s[6:7], 0
	global_store_byte v[4:5], v3, off
.LBB19_1965:
	s_and_b64 vcc, exec, s[6:7]
	s_cbranch_vccz .LBB19_1975
; %bb.1966:
	v_and_b32_e32 v3, 0x7fffffff, v10
	s_mov_b32 s6, 0x43f00000
	v_cmp_gt_u32_e32 vcc, s6, v3
                                        ; implicit-def: $vgpr1
	s_and_saveexec_b64 s[6:7], vcc
	s_xor_b64 s[6:7], exec, s[6:7]
	s_cbranch_execz .LBB19_1972
; %bb.1967:
	s_mov_b32 s8, 0x3c7fffff
	v_cmp_lt_u32_e32 vcc, s8, v3
                                        ; implicit-def: $vgpr1
	s_and_saveexec_b64 s[8:9], vcc
	s_xor_b64 s[8:9], exec, s[8:9]
; %bb.1968:
	v_bfe_u32 v1, v10, 20, 1
	s_mov_b32 s10, 0x407ffff
	v_add3_u32 v1, v10, v1, s10
	v_lshrrev_b32_e32 v3, 20, v1
	v_and_b32_e32 v1, 0xff00000, v1
	s_mov_b32 s10, 0x7f00000
	v_mov_b32_e32 v6, 0x7e
	v_cmp_ne_u32_e32 vcc, s10, v1
	s_nop 1
	v_cndmask_b32_e32 v1, v6, v3, vcc
; %bb.1969:
	s_andn2_saveexec_b64 s[8:9], s[8:9]
; %bb.1970:
	s_mov_b32 s10, 0x46800000
	v_add_f32_e64 v1, |v10|, s10
; %bb.1971:
	s_or_b64 exec, exec, s[8:9]
                                        ; implicit-def: $vgpr3
.LBB19_1972:
	s_andn2_saveexec_b64 s[6:7], s[6:7]
; %bb.1973:
	s_mov_b32 s8, 0x7f800000
	v_mov_b32_e32 v1, 0x7e
	v_mov_b32_e32 v6, 0x7f
	v_cmp_lt_u32_e32 vcc, s8, v3
	s_nop 1
	v_cndmask_b32_e32 v1, v1, v6, vcc
; %bb.1974:
	s_or_b64 exec, exec, s[6:7]
	v_lshrrev_b32_e32 v3, 24, v10
	s_movk_i32 s6, 0x80
	v_and_or_b32 v1, v3, s6, v1
	global_store_byte v[4:5], v1, off
.LBB19_1975:
	s_mov_b64 s[6:7], 0
.LBB19_1976:
	s_andn2_b64 vcc, exec, s[6:7]
	s_cbranch_vccnz .LBB19_1986
; %bb.1977:
	v_and_b32_e32 v3, 0x7fffffff, v10
	s_mov_b32 s6, 0x47800000
	v_cmp_gt_u32_e32 vcc, s6, v3
                                        ; implicit-def: $vgpr1
	s_and_saveexec_b64 s[6:7], vcc
	s_xor_b64 s[6:7], exec, s[6:7]
	s_cbranch_execz .LBB19_1983
; %bb.1978:
	s_mov_b32 s8, 0x387fffff
	v_cmp_lt_u32_e32 vcc, s8, v3
                                        ; implicit-def: $vgpr1
	s_and_saveexec_b64 s[8:9], vcc
	s_xor_b64 s[8:9], exec, s[8:9]
; %bb.1979:
	v_bfe_u32 v1, v10, 21, 1
	s_mov_b32 s10, 0x80fffff
	v_add3_u32 v1, v10, v1, s10
	v_lshrrev_b32_e32 v1, 21, v1
; %bb.1980:
	s_andn2_saveexec_b64 s[8:9], s[8:9]
; %bb.1981:
	s_mov_b32 s10, 0x43000000
	v_add_f32_e64 v1, |v10|, s10
; %bb.1982:
	s_or_b64 exec, exec, s[8:9]
                                        ; implicit-def: $vgpr3
.LBB19_1983:
	s_andn2_saveexec_b64 s[6:7], s[6:7]
; %bb.1984:
	s_mov_b32 s8, 0x7f800000
	v_mov_b32_e32 v1, 0x7c
	v_mov_b32_e32 v6, 0x7f
	v_cmp_lt_u32_e32 vcc, s8, v3
	s_nop 1
	v_cndmask_b32_e32 v1, v1, v6, vcc
; %bb.1985:
	s_or_b64 exec, exec, s[6:7]
	v_lshrrev_b32_e32 v3, 24, v10
	s_movk_i32 s6, 0x80
	v_and_or_b32 v1, v3, s6, v1
	global_store_byte v[4:5], v1, off
.LBB19_1986:
	s_mov_b64 s[6:7], 0
	s_mov_b64 s[8:9], -1
.LBB19_1987:
	s_andn2_b64 vcc, exec, s[6:7]
	s_mov_b64 s[6:7], 0
	s_cbranch_vccnz .LBB19_1994
; %bb.1988:
	s_cmp_gt_i32 s15, 14
	s_mov_b64 s[10:11], -1
	s_cbranch_scc0 .LBB19_1992
; %bb.1989:
	s_cmp_eq_u32 s15, 15
	s_mov_b64 s[0:1], -1
	s_cbranch_scc0 .LBB19_1991
; %bb.1990:
	v_bfe_u32 v1, v10, 16, 1
	s_movk_i32 s0, 0x7fff
	v_add3_u32 v1, v10, v1, s0
	v_cmp_o_f32_e32 vcc, v10, v10
	v_mov_b32_e32 v3, 0x7fc0
	s_mov_b64 s[0:1], 0
	v_cndmask_b32_sdwa v1, v3, v1, vcc dst_sel:DWORD dst_unused:UNUSED_PAD src0_sel:DWORD src1_sel:WORD_1
	global_store_short v[4:5], v1, off
	s_mov_b64 s[8:9], -1
.LBB19_1991:
	s_mov_b64 s[10:11], 0
.LBB19_1992:
	s_and_b64 vcc, exec, s[10:11]
	s_cbranch_vccz .LBB19_1994
; %bb.1993:
	s_cmp_lg_u32 s15, 11
	s_mov_b64 s[6:7], -1
	s_cselect_b64 s[0:1], -1, 0
.LBB19_1994:
	s_and_b64 vcc, exec, s[0:1]
	s_cbranch_vccnz .LBB19_2244
; %bb.1995:
	s_andn2_b64 vcc, exec, s[6:7]
	s_cbranch_vccnz .LBB19_1997
.LBB19_1996:
	v_cmp_neq_f32_e32 vcc, 0, v10
	s_mov_b64 s[8:9], -1
	s_nop 0
	v_cndmask_b32_e64 v1, 0, 1, vcc
	global_store_byte v[4:5], v1, off
.LBB19_1997:
	s_mov_b64 s[0:1], 0
	s_branch .LBB19_1999
.LBB19_1998:
	s_mov_b64 s[0:1], -1
	s_mov_b64 s[8:9], 0
.LBB19_1999:
	s_and_b64 vcc, exec, s[0:1]
	s_cbranch_vccz .LBB19_2038
; %bb.2000:
	s_and_b32 s6, 0xffff, s14
	s_cmp_lt_i32 s6, 5
	s_mov_b64 s[0:1], -1
	s_cbranch_scc1 .LBB19_2021
; %bb.2001:
	s_cmp_lt_i32 s6, 8
	s_cbranch_scc1 .LBB19_2011
; %bb.2002:
	s_cmp_lt_i32 s6, 9
	s_cbranch_scc1 .LBB19_2008
; %bb.2003:
	s_cmp_gt_i32 s6, 9
	s_cbranch_scc0 .LBB19_2005
; %bb.2004:
	v_mov_b32_e32 v8, 0
	v_cvt_f64_f32_e32 v[6:7], v10
	v_mov_b32_e32 v9, v8
	global_store_dwordx4 v[4:5], v[6:9], off
	s_mov_b64 s[0:1], 0
.LBB19_2005:
	s_andn2_b64 vcc, exec, s[0:1]
	s_cbranch_vccnz .LBB19_2007
; %bb.2006:
	v_mov_b32_e32 v11, 0
	global_store_dwordx2 v[4:5], v[10:11], off
.LBB19_2007:
	s_mov_b64 s[0:1], 0
.LBB19_2008:
	s_andn2_b64 vcc, exec, s[0:1]
	s_cbranch_vccnz .LBB19_2010
; %bb.2009:
	v_cvt_f16_f32_e32 v1, v10
	global_store_dword v[4:5], v1, off
.LBB19_2010:
	s_mov_b64 s[0:1], 0
.LBB19_2011:
	s_andn2_b64 vcc, exec, s[0:1]
	s_cbranch_vccnz .LBB19_2020
; %bb.2012:
	s_cmp_lt_i32 s6, 6
	s_mov_b64 s[0:1], -1
	s_cbranch_scc1 .LBB19_2018
; %bb.2013:
	s_cmp_gt_i32 s6, 6
	s_cbranch_scc0 .LBB19_2015
; %bb.2014:
	v_cvt_f64_f32_e32 v[6:7], v10
	global_store_dwordx2 v[4:5], v[6:7], off
	s_mov_b64 s[0:1], 0
.LBB19_2015:
	s_andn2_b64 vcc, exec, s[0:1]
	s_cbranch_vccnz .LBB19_2017
; %bb.2016:
	global_store_dword v[4:5], v10, off
.LBB19_2017:
	s_mov_b64 s[0:1], 0
.LBB19_2018:
	s_andn2_b64 vcc, exec, s[0:1]
	s_cbranch_vccnz .LBB19_2020
; %bb.2019:
	v_cvt_f16_f32_e32 v1, v10
	global_store_short v[4:5], v1, off
.LBB19_2020:
	s_mov_b64 s[0:1], 0
.LBB19_2021:
	s_andn2_b64 vcc, exec, s[0:1]
	s_cbranch_vccnz .LBB19_2037
; %bb.2022:
	s_cmp_lt_i32 s6, 2
	s_mov_b64 s[0:1], -1
	s_cbranch_scc1 .LBB19_2032
; %bb.2023:
	s_cmp_lt_i32 s6, 3
	s_cbranch_scc1 .LBB19_2029
; %bb.2024:
	s_cmp_gt_i32 s6, 3
	s_cbranch_scc0 .LBB19_2026
; %bb.2025:
	v_trunc_f32_e32 v1, v10
	s_mov_b32 s0, 0x2f800000
	v_mul_f32_e64 v3, |v1|, s0
	v_floor_f32_e32 v3, v3
	s_mov_b32 s0, 0xcf800000
	v_cvt_u32_f32_e32 v6, v3
	v_fma_f32 v3, v3, s0, |v1|
	v_cvt_u32_f32_e32 v3, v3
	v_ashrrev_i32_e32 v1, 31, v1
	v_xor_b32_e32 v7, v6, v1
	s_mov_b64 s[0:1], 0
	v_xor_b32_e32 v3, v3, v1
	v_sub_co_u32_e32 v6, vcc, v3, v1
	s_nop 1
	v_subb_co_u32_e32 v7, vcc, v7, v1, vcc
	global_store_dwordx2 v[4:5], v[6:7], off
.LBB19_2026:
	s_andn2_b64 vcc, exec, s[0:1]
	s_cbranch_vccnz .LBB19_2028
; %bb.2027:
	v_cvt_i32_f32_e32 v1, v10
	global_store_dword v[4:5], v1, off
.LBB19_2028:
	s_mov_b64 s[0:1], 0
.LBB19_2029:
	s_andn2_b64 vcc, exec, s[0:1]
	s_cbranch_vccnz .LBB19_2031
; %bb.2030:
	v_cvt_i32_f32_e32 v1, v10
	global_store_short v[4:5], v1, off
.LBB19_2031:
	s_mov_b64 s[0:1], 0
.LBB19_2032:
	s_andn2_b64 vcc, exec, s[0:1]
	s_cbranch_vccnz .LBB19_2037
; %bb.2033:
	s_cmp_gt_i32 s6, 0
	s_mov_b64 s[0:1], -1
	s_cbranch_scc0 .LBB19_2035
; %bb.2034:
	v_cvt_i32_f32_e32 v1, v10
	s_mov_b64 s[0:1], 0
	global_store_byte v[4:5], v1, off
.LBB19_2035:
	s_andn2_b64 vcc, exec, s[0:1]
	s_cbranch_vccnz .LBB19_2037
; %bb.2036:
	v_trunc_f32_e32 v1, v10
	s_mov_b32 s0, 0x2f800000
	v_mul_f32_e64 v3, |v1|, s0
	v_floor_f32_e32 v3, v3
	s_mov_b32 s0, 0xcf800000
	v_fma_f32 v3, v3, s0, |v1|
	v_cvt_u32_f32_e32 v3, v3
	v_ashrrev_i32_e32 v1, 31, v1
	v_xor_b32_e32 v3, v3, v1
	v_sub_u32_e32 v1, v3, v1
	global_store_byte v[4:5], v1, off
.LBB19_2037:
	s_mov_b64 s[8:9], -1
.LBB19_2038:
	s_andn2_b64 vcc, exec, s[8:9]
	s_cbranch_vccnz .LBB19_2234
; %bb.2039:
	v_mov_b32_e32 v3, 0
	s_cmp_lt_i32 s14, 11
	v_lshl_add_u64 v[2:3], s[4:5], 0, v[2:3]
	s_cbranch_scc1 .LBB19_2117
; %bb.2040:
	s_and_b32 s15, 0xffff, s14
	s_mov_b64 s[10:11], -1
	s_mov_b64 s[6:7], 0
	s_cmp_gt_i32 s15, 25
	s_mov_b64 s[8:9], 0
	s_mov_b64 s[0:1], 0
	s_cbranch_scc0 .LBB19_2073
; %bb.2041:
	s_cmp_gt_i32 s15, 28
	s_cbranch_scc0 .LBB19_2056
; %bb.2042:
	s_cmp_gt_i32 s15, 43
	;; [unrolled: 3-line block ×3, first 2 shown]
	s_cbranch_scc0 .LBB19_2046
; %bb.2044:
	s_mov_b64 s[0:1], -1
	s_mov_b64 s[10:11], 0
	s_cmp_eq_u32 s15, 46
	s_cbranch_scc0 .LBB19_2046
; %bb.2045:
	v_bfe_u32 v1, v12, 16, 1
	s_movk_i32 s0, 0x7fff
	v_add3_u32 v1, v12, v1, s0
	v_cmp_o_f32_e32 vcc, v12, v12
	v_mov_b32_e32 v4, 0x7fc0
	s_mov_b64 s[0:1], 0
	v_cndmask_b32_sdwa v1, v4, v1, vcc dst_sel:DWORD dst_unused:UNUSED_PAD src0_sel:DWORD src1_sel:WORD_1
	global_store_dword v[2:3], v1, off
	s_mov_b64 s[8:9], -1
.LBB19_2046:
	s_and_b64 vcc, exec, s[10:11]
	s_cbranch_vccz .LBB19_2051
; %bb.2047:
	s_cmp_eq_u32 s15, 44
	s_mov_b64 s[0:1], -1
	s_cbranch_scc0 .LBB19_2051
; %bb.2048:
	v_bfe_u32 v1, v12, 23, 8
	s_movk_i32 s0, 0xff
	v_cmp_ne_u32_e32 vcc, s0, v1
	v_mov_b32_e32 v4, 0xff
	s_and_saveexec_b64 s[8:9], vcc
; %bb.2049:
	s_mov_b32 s0, 0x3fffff
	v_and_b32_e32 v5, 0x400000, v12
	v_and_or_b32 v1, v12, s0, v1
	v_cmp_ne_u32_e32 vcc, 0, v5
	v_cmp_ne_u32_e64 s[0:1], 0, v1
	s_and_b64 s[0:1], vcc, s[0:1]
	v_lshrrev_b32_e32 v4, 23, v12
	v_cndmask_b32_e64 v1, 0, 1, s[0:1]
	v_add_u32_e32 v4, v4, v1
; %bb.2050:
	s_or_b64 exec, exec, s[8:9]
	s_mov_b64 s[0:1], 0
	s_mov_b64 s[8:9], -1
	global_store_byte v[2:3], v4, off
.LBB19_2051:
	s_mov_b64 s[10:11], 0
.LBB19_2052:
	s_and_b64 vcc, exec, s[10:11]
	s_cbranch_vccz .LBB19_2055
; %bb.2053:
	s_cmp_eq_u32 s15, 29
	s_mov_b64 s[0:1], -1
	s_cbranch_scc0 .LBB19_2055
; %bb.2054:
	v_trunc_f32_e32 v1, v12
	v_mul_f32_e32 v4, 0x2f800000, v1
	v_floor_f32_e32 v4, v4
	v_fmamk_f32 v1, v4, 0xcf800000, v1
	v_cvt_u32_f32_e32 v5, v4
	v_cvt_u32_f32_e32 v4, v1
	s_mov_b64 s[0:1], 0
	s_mov_b64 s[8:9], -1
	global_store_dwordx2 v[2:3], v[4:5], off
.LBB19_2055:
	s_mov_b64 s[10:11], 0
.LBB19_2056:
	s_and_b64 vcc, exec, s[10:11]
	s_cbranch_vccz .LBB19_2072
; %bb.2057:
	s_cmp_lt_i32 s15, 27
	s_mov_b64 s[8:9], -1
	s_cbranch_scc1 .LBB19_2063
; %bb.2058:
	v_cvt_u32_f32_e32 v1, v12
	s_cmp_gt_i32 s15, 27
	s_cbranch_scc0 .LBB19_2060
; %bb.2059:
	s_mov_b64 s[8:9], 0
	global_store_dword v[2:3], v1, off
.LBB19_2060:
	s_andn2_b64 vcc, exec, s[8:9]
	s_cbranch_vccnz .LBB19_2062
; %bb.2061:
	global_store_short v[2:3], v1, off
.LBB19_2062:
	s_mov_b64 s[8:9], 0
.LBB19_2063:
	s_andn2_b64 vcc, exec, s[8:9]
	s_cbranch_vccnz .LBB19_2071
; %bb.2064:
	v_and_b32_e32 v1, 0x7fffffff, v12
	s_mov_b32 s8, 0x43800000
	v_cmp_gt_u32_e32 vcc, s8, v1
	v_mov_b32_e32 v4, 0x80
	s_and_saveexec_b64 s[8:9], vcc
	s_cbranch_execz .LBB19_2070
; %bb.2065:
	s_mov_b32 s10, 0x3bffffff
	v_cmp_lt_u32_e32 vcc, s10, v1
	s_mov_b64 s[10:11], 0
                                        ; implicit-def: $vgpr1
	s_and_saveexec_b64 s[12:13], vcc
	s_xor_b64 s[12:13], exec, s[12:13]
	s_cbranch_execz .LBB19_2247
; %bb.2066:
	v_bfe_u32 v1, v12, 20, 1
	s_mov_b32 s16, 0x487ffff
	v_add3_u32 v1, v12, v1, s16
	s_mov_b64 s[10:11], exec
	v_lshrrev_b32_e32 v1, 20, v1
	s_andn2_saveexec_b64 s[12:13], s[12:13]
	s_cbranch_execnz .LBB19_2248
.LBB19_2067:
	s_or_b64 exec, exec, s[12:13]
	v_mov_b32_e32 v4, 0
	s_and_saveexec_b64 s[12:13], s[10:11]
.LBB19_2068:
	v_lshrrev_b32_e32 v4, 24, v12
	s_movk_i32 s10, 0x80
	v_and_or_b32 v4, v4, s10, v1
.LBB19_2069:
	s_or_b64 exec, exec, s[12:13]
.LBB19_2070:
	s_or_b64 exec, exec, s[8:9]
	global_store_byte v[2:3], v4, off
.LBB19_2071:
	s_mov_b64 s[8:9], -1
.LBB19_2072:
	s_mov_b64 s[10:11], 0
.LBB19_2073:
	s_and_b64 vcc, exec, s[10:11]
	s_cbranch_vccz .LBB19_2113
; %bb.2074:
	s_cmp_gt_i32 s15, 22
	s_mov_b64 s[6:7], -1
	s_cbranch_scc0 .LBB19_2106
; %bb.2075:
	s_cmp_lt_i32 s15, 24
	s_cbranch_scc1 .LBB19_2095
; %bb.2076:
	s_cmp_gt_i32 s15, 24
	s_cbranch_scc0 .LBB19_2084
; %bb.2077:
	v_and_b32_e32 v1, 0x7fffffff, v12
	s_mov_b32 s6, 0x47800000
	v_cmp_gt_u32_e32 vcc, s6, v1
	v_mov_b32_e32 v4, 0x80
	s_and_saveexec_b64 s[6:7], vcc
	s_cbranch_execz .LBB19_2083
; %bb.2078:
	s_mov_b32 s8, 0x37ffffff
	v_cmp_lt_u32_e32 vcc, s8, v1
	s_mov_b64 s[8:9], 0
                                        ; implicit-def: $vgpr1
	s_and_saveexec_b64 s[10:11], vcc
	s_xor_b64 s[10:11], exec, s[10:11]
	s_cbranch_execz .LBB19_2250
; %bb.2079:
	v_bfe_u32 v1, v12, 21, 1
	s_mov_b32 s12, 0x88fffff
	v_add3_u32 v1, v12, v1, s12
	s_mov_b64 s[8:9], exec
	v_lshrrev_b32_e32 v1, 21, v1
	s_andn2_saveexec_b64 s[10:11], s[10:11]
	s_cbranch_execnz .LBB19_2251
.LBB19_2080:
	s_or_b64 exec, exec, s[10:11]
	v_mov_b32_e32 v4, 0
	s_and_saveexec_b64 s[10:11], s[8:9]
.LBB19_2081:
	v_lshrrev_b32_e32 v4, 24, v12
	s_movk_i32 s8, 0x80
	v_and_or_b32 v4, v4, s8, v1
.LBB19_2082:
	s_or_b64 exec, exec, s[10:11]
.LBB19_2083:
	s_or_b64 exec, exec, s[6:7]
	s_mov_b64 s[6:7], 0
	global_store_byte v[2:3], v4, off
.LBB19_2084:
	s_and_b64 vcc, exec, s[6:7]
	s_cbranch_vccz .LBB19_2094
; %bb.2085:
	v_and_b32_e32 v4, 0x7fffffff, v12
	s_mov_b32 s6, 0x43f00000
	v_cmp_gt_u32_e32 vcc, s6, v4
                                        ; implicit-def: $vgpr1
	s_and_saveexec_b64 s[6:7], vcc
	s_xor_b64 s[6:7], exec, s[6:7]
	s_cbranch_execz .LBB19_2091
; %bb.2086:
	s_mov_b32 s8, 0x3c7fffff
	v_cmp_lt_u32_e32 vcc, s8, v4
                                        ; implicit-def: $vgpr1
	s_and_saveexec_b64 s[8:9], vcc
	s_xor_b64 s[8:9], exec, s[8:9]
; %bb.2087:
	v_bfe_u32 v1, v12, 20, 1
	s_mov_b32 s10, 0x407ffff
	v_add3_u32 v1, v12, v1, s10
	v_lshrrev_b32_e32 v4, 20, v1
	v_and_b32_e32 v1, 0xff00000, v1
	s_mov_b32 s10, 0x7f00000
	v_mov_b32_e32 v5, 0x7e
	v_cmp_ne_u32_e32 vcc, s10, v1
	s_nop 1
	v_cndmask_b32_e32 v1, v5, v4, vcc
; %bb.2088:
	s_andn2_saveexec_b64 s[8:9], s[8:9]
; %bb.2089:
	s_mov_b32 s10, 0x46800000
	v_add_f32_e64 v1, |v12|, s10
; %bb.2090:
	s_or_b64 exec, exec, s[8:9]
                                        ; implicit-def: $vgpr4
.LBB19_2091:
	s_andn2_saveexec_b64 s[6:7], s[6:7]
; %bb.2092:
	s_mov_b32 s8, 0x7f800000
	v_mov_b32_e32 v1, 0x7e
	v_mov_b32_e32 v5, 0x7f
	v_cmp_lt_u32_e32 vcc, s8, v4
	s_nop 1
	v_cndmask_b32_e32 v1, v1, v5, vcc
; %bb.2093:
	s_or_b64 exec, exec, s[6:7]
	v_lshrrev_b32_e32 v4, 24, v12
	s_movk_i32 s6, 0x80
	v_and_or_b32 v1, v4, s6, v1
	global_store_byte v[2:3], v1, off
.LBB19_2094:
	s_mov_b64 s[6:7], 0
.LBB19_2095:
	s_andn2_b64 vcc, exec, s[6:7]
	s_cbranch_vccnz .LBB19_2105
; %bb.2096:
	v_and_b32_e32 v4, 0x7fffffff, v12
	s_mov_b32 s6, 0x47800000
	v_cmp_gt_u32_e32 vcc, s6, v4
                                        ; implicit-def: $vgpr1
	s_and_saveexec_b64 s[6:7], vcc
	s_xor_b64 s[6:7], exec, s[6:7]
	s_cbranch_execz .LBB19_2102
; %bb.2097:
	s_mov_b32 s8, 0x387fffff
	v_cmp_lt_u32_e32 vcc, s8, v4
                                        ; implicit-def: $vgpr1
	s_and_saveexec_b64 s[8:9], vcc
	s_xor_b64 s[8:9], exec, s[8:9]
; %bb.2098:
	v_bfe_u32 v1, v12, 21, 1
	s_mov_b32 s10, 0x80fffff
	v_add3_u32 v1, v12, v1, s10
	v_lshrrev_b32_e32 v1, 21, v1
; %bb.2099:
	s_andn2_saveexec_b64 s[8:9], s[8:9]
; %bb.2100:
	s_mov_b32 s10, 0x43000000
	v_add_f32_e64 v1, |v12|, s10
; %bb.2101:
	s_or_b64 exec, exec, s[8:9]
                                        ; implicit-def: $vgpr4
.LBB19_2102:
	s_andn2_saveexec_b64 s[6:7], s[6:7]
; %bb.2103:
	s_mov_b32 s8, 0x7f800000
	v_mov_b32_e32 v1, 0x7c
	v_mov_b32_e32 v5, 0x7f
	v_cmp_lt_u32_e32 vcc, s8, v4
	s_nop 1
	v_cndmask_b32_e32 v1, v1, v5, vcc
; %bb.2104:
	s_or_b64 exec, exec, s[6:7]
	v_lshrrev_b32_e32 v4, 24, v12
	s_movk_i32 s6, 0x80
	v_and_or_b32 v1, v4, s6, v1
	global_store_byte v[2:3], v1, off
.LBB19_2105:
	s_mov_b64 s[6:7], 0
	s_mov_b64 s[8:9], -1
.LBB19_2106:
	s_andn2_b64 vcc, exec, s[6:7]
	s_mov_b64 s[6:7], 0
	s_cbranch_vccnz .LBB19_2113
; %bb.2107:
	s_cmp_gt_i32 s15, 14
	s_mov_b64 s[10:11], -1
	s_cbranch_scc0 .LBB19_2111
; %bb.2108:
	s_cmp_eq_u32 s15, 15
	s_mov_b64 s[0:1], -1
	s_cbranch_scc0 .LBB19_2110
; %bb.2109:
	v_bfe_u32 v1, v12, 16, 1
	s_movk_i32 s0, 0x7fff
	v_add3_u32 v1, v12, v1, s0
	v_cmp_o_f32_e32 vcc, v12, v12
	v_mov_b32_e32 v4, 0x7fc0
	s_mov_b64 s[0:1], 0
	v_cndmask_b32_sdwa v1, v4, v1, vcc dst_sel:DWORD dst_unused:UNUSED_PAD src0_sel:DWORD src1_sel:WORD_1
	global_store_short v[2:3], v1, off
	s_mov_b64 s[8:9], -1
.LBB19_2110:
	s_mov_b64 s[10:11], 0
.LBB19_2111:
	s_and_b64 vcc, exec, s[10:11]
	s_cbranch_vccz .LBB19_2113
; %bb.2112:
	s_cmp_lg_u32 s15, 11
	s_mov_b64 s[6:7], -1
	s_cselect_b64 s[0:1], -1, 0
.LBB19_2113:
	s_and_b64 vcc, exec, s[0:1]
	s_cbranch_vccnz .LBB19_2249
; %bb.2114:
	s_andn2_b64 vcc, exec, s[6:7]
	s_cbranch_vccnz .LBB19_2116
.LBB19_2115:
	v_cmp_neq_f32_e32 vcc, 0, v12
	s_mov_b64 s[8:9], -1
	s_nop 0
	v_cndmask_b32_e64 v1, 0, 1, vcc
	global_store_byte v[2:3], v1, off
.LBB19_2116:
	s_mov_b64 s[0:1], 0
	s_branch .LBB19_2118
.LBB19_2117:
	s_mov_b64 s[0:1], -1
	s_mov_b64 s[8:9], 0
.LBB19_2118:
	s_and_b64 vcc, exec, s[0:1]
	s_cbranch_vccz .LBB19_2157
; %bb.2119:
	s_and_b32 s6, 0xffff, s14
	s_cmp_lt_i32 s6, 5
	s_mov_b64 s[0:1], -1
	s_cbranch_scc1 .LBB19_2140
; %bb.2120:
	s_cmp_lt_i32 s6, 8
	s_cbranch_scc1 .LBB19_2130
; %bb.2121:
	s_cmp_lt_i32 s6, 9
	s_cbranch_scc1 .LBB19_2127
; %bb.2122:
	s_cmp_gt_i32 s6, 9
	s_cbranch_scc0 .LBB19_2124
; %bb.2123:
	v_mov_b32_e32 v6, 0
	v_cvt_f64_f32_e32 v[4:5], v12
	v_mov_b32_e32 v7, v6
	global_store_dwordx4 v[2:3], v[4:7], off
	s_mov_b64 s[0:1], 0
.LBB19_2124:
	s_andn2_b64 vcc, exec, s[0:1]
	s_cbranch_vccnz .LBB19_2126
; %bb.2125:
	v_mov_b32_e32 v13, 0
	global_store_dwordx2 v[2:3], v[12:13], off
.LBB19_2126:
	s_mov_b64 s[0:1], 0
.LBB19_2127:
	s_andn2_b64 vcc, exec, s[0:1]
	s_cbranch_vccnz .LBB19_2129
; %bb.2128:
	v_cvt_f16_f32_e32 v1, v12
	global_store_dword v[2:3], v1, off
.LBB19_2129:
	s_mov_b64 s[0:1], 0
.LBB19_2130:
	s_andn2_b64 vcc, exec, s[0:1]
	s_cbranch_vccnz .LBB19_2139
; %bb.2131:
	s_cmp_lt_i32 s6, 6
	s_mov_b64 s[0:1], -1
	s_cbranch_scc1 .LBB19_2137
; %bb.2132:
	s_cmp_gt_i32 s6, 6
	s_cbranch_scc0 .LBB19_2134
; %bb.2133:
	v_cvt_f64_f32_e32 v[4:5], v12
	global_store_dwordx2 v[2:3], v[4:5], off
	s_mov_b64 s[0:1], 0
.LBB19_2134:
	s_andn2_b64 vcc, exec, s[0:1]
	s_cbranch_vccnz .LBB19_2136
; %bb.2135:
	global_store_dword v[2:3], v12, off
.LBB19_2136:
	s_mov_b64 s[0:1], 0
.LBB19_2137:
	s_andn2_b64 vcc, exec, s[0:1]
	s_cbranch_vccnz .LBB19_2139
; %bb.2138:
	v_cvt_f16_f32_e32 v1, v12
	global_store_short v[2:3], v1, off
.LBB19_2139:
	s_mov_b64 s[0:1], 0
.LBB19_2140:
	s_andn2_b64 vcc, exec, s[0:1]
	s_cbranch_vccnz .LBB19_2156
; %bb.2141:
	s_cmp_lt_i32 s6, 2
	s_mov_b64 s[0:1], -1
	s_cbranch_scc1 .LBB19_2151
; %bb.2142:
	s_cmp_lt_i32 s6, 3
	s_cbranch_scc1 .LBB19_2148
; %bb.2143:
	s_cmp_gt_i32 s6, 3
	s_cbranch_scc0 .LBB19_2145
; %bb.2144:
	v_trunc_f32_e32 v1, v12
	s_mov_b32 s0, 0x2f800000
	v_mul_f32_e64 v4, |v1|, s0
	v_floor_f32_e32 v4, v4
	s_mov_b32 s0, 0xcf800000
	v_cvt_u32_f32_e32 v5, v4
	v_fma_f32 v4, v4, s0, |v1|
	v_cvt_u32_f32_e32 v4, v4
	v_ashrrev_i32_e32 v1, 31, v1
	v_xor_b32_e32 v5, v5, v1
	s_mov_b64 s[0:1], 0
	v_xor_b32_e32 v4, v4, v1
	v_sub_co_u32_e32 v4, vcc, v4, v1
	s_nop 1
	v_subb_co_u32_e32 v5, vcc, v5, v1, vcc
	global_store_dwordx2 v[2:3], v[4:5], off
.LBB19_2145:
	s_andn2_b64 vcc, exec, s[0:1]
	s_cbranch_vccnz .LBB19_2147
; %bb.2146:
	v_cvt_i32_f32_e32 v1, v12
	global_store_dword v[2:3], v1, off
.LBB19_2147:
	s_mov_b64 s[0:1], 0
.LBB19_2148:
	s_andn2_b64 vcc, exec, s[0:1]
	s_cbranch_vccnz .LBB19_2150
; %bb.2149:
	v_cvt_i32_f32_e32 v1, v12
	global_store_short v[2:3], v1, off
.LBB19_2150:
	s_mov_b64 s[0:1], 0
.LBB19_2151:
	s_andn2_b64 vcc, exec, s[0:1]
	s_cbranch_vccnz .LBB19_2156
; %bb.2152:
	s_cmp_gt_i32 s6, 0
	s_mov_b64 s[0:1], -1
	s_cbranch_scc0 .LBB19_2154
; %bb.2153:
	v_cvt_i32_f32_e32 v1, v12
	s_mov_b64 s[0:1], 0
	global_store_byte v[2:3], v1, off
.LBB19_2154:
	s_andn2_b64 vcc, exec, s[0:1]
	s_cbranch_vccnz .LBB19_2156
; %bb.2155:
	v_trunc_f32_e32 v1, v12
	s_mov_b32 s0, 0x2f800000
	v_mul_f32_e64 v4, |v1|, s0
	v_floor_f32_e32 v4, v4
	s_mov_b32 s0, 0xcf800000
	v_fma_f32 v4, v4, s0, |v1|
	v_cvt_u32_f32_e32 v4, v4
	v_ashrrev_i32_e32 v1, 31, v1
	v_xor_b32_e32 v4, v4, v1
	v_sub_u32_e32 v1, v4, v1
	global_store_byte v[2:3], v1, off
.LBB19_2156:
	s_mov_b64 s[8:9], -1
.LBB19_2157:
	s_andn2_b64 vcc, exec, s[8:9]
	s_cbranch_vccnz .LBB19_2234
; %bb.2158:
	v_mov_b32_e32 v1, 0
	s_cmp_lt_i32 s14, 11
	v_lshl_add_u64 v[0:1], s[4:5], 0, v[0:1]
	s_cbranch_scc1 .LBB19_2235
; %bb.2159:
	s_and_b32 s12, 0xffff, s14
	s_mov_b64 s[6:7], -1
	s_mov_b64 s[4:5], 0
	s_cmp_gt_i32 s12, 25
	s_mov_b64 s[0:1], 0
	s_cbranch_scc0 .LBB19_2192
; %bb.2160:
	s_cmp_gt_i32 s12, 28
	s_cbranch_scc0 .LBB19_2176
; %bb.2161:
	s_cmp_gt_i32 s12, 43
	;; [unrolled: 3-line block ×3, first 2 shown]
	s_cbranch_scc0 .LBB19_2166
; %bb.2163:
	s_cmp_eq_u32 s12, 46
	s_mov_b64 s[0:1], -1
	s_cbranch_scc0 .LBB19_2165
; %bb.2164:
	v_bfe_u32 v2, v14, 16, 1
	s_movk_i32 s0, 0x7fff
	v_add3_u32 v2, v14, v2, s0
	v_cmp_o_f32_e32 vcc, v14, v14
	v_mov_b32_e32 v3, 0x7fc0
	s_mov_b64 s[0:1], 0
	v_cndmask_b32_sdwa v2, v3, v2, vcc dst_sel:DWORD dst_unused:UNUSED_PAD src0_sel:DWORD src1_sel:WORD_1
	global_store_dword v[0:1], v2, off
.LBB19_2165:
	s_mov_b64 s[6:7], 0
.LBB19_2166:
	s_and_b64 vcc, exec, s[6:7]
	s_cbranch_vccz .LBB19_2171
; %bb.2167:
	s_cmp_eq_u32 s12, 44
	s_mov_b64 s[0:1], -1
	s_cbranch_scc0 .LBB19_2171
; %bb.2168:
	v_bfe_u32 v2, v14, 23, 8
	s_movk_i32 s0, 0xff
	v_cmp_ne_u32_e32 vcc, s0, v2
	v_mov_b32_e32 v3, 0xff
	s_and_saveexec_b64 s[6:7], vcc
; %bb.2169:
	s_mov_b32 s0, 0x3fffff
	v_and_b32_e32 v4, 0x400000, v14
	v_and_or_b32 v2, v14, s0, v2
	v_cmp_ne_u32_e32 vcc, 0, v4
	v_cmp_ne_u32_e64 s[0:1], 0, v2
	s_and_b64 s[0:1], vcc, s[0:1]
	v_lshrrev_b32_e32 v3, 23, v14
	v_cndmask_b32_e64 v2, 0, 1, s[0:1]
	v_add_u32_e32 v3, v3, v2
; %bb.2170:
	s_or_b64 exec, exec, s[6:7]
	s_mov_b64 s[0:1], 0
	global_store_byte v[0:1], v3, off
.LBB19_2171:
	s_mov_b64 s[6:7], 0
.LBB19_2172:
	s_and_b64 vcc, exec, s[6:7]
	s_cbranch_vccz .LBB19_2175
; %bb.2173:
	s_cmp_eq_u32 s12, 29
	s_mov_b64 s[0:1], -1
	s_cbranch_scc0 .LBB19_2175
; %bb.2174:
	v_trunc_f32_e32 v2, v14
	v_mul_f32_e32 v3, 0x2f800000, v2
	v_floor_f32_e32 v4, v3
	v_fmamk_f32 v2, v4, 0xcf800000, v2
	v_cvt_u32_f32_e32 v3, v4
	v_cvt_u32_f32_e32 v2, v2
	s_mov_b64 s[0:1], 0
	global_store_dwordx2 v[0:1], v[2:3], off
.LBB19_2175:
	s_mov_b64 s[6:7], 0
.LBB19_2176:
	s_and_b64 vcc, exec, s[6:7]
	s_cbranch_vccz .LBB19_2191
; %bb.2177:
	s_cmp_lt_i32 s12, 27
	s_mov_b64 s[6:7], -1
	s_cbranch_scc1 .LBB19_2183
; %bb.2178:
	s_cmp_gt_i32 s12, 27
	s_cbranch_scc0 .LBB19_2180
; %bb.2179:
	v_cvt_u32_f32_e32 v2, v14
	s_mov_b64 s[6:7], 0
	global_store_dword v[0:1], v2, off
.LBB19_2180:
	s_andn2_b64 vcc, exec, s[6:7]
	s_cbranch_vccnz .LBB19_2182
; %bb.2181:
	v_cvt_u32_f32_e32 v2, v14
	global_store_short v[0:1], v2, off
.LBB19_2182:
	s_mov_b64 s[6:7], 0
.LBB19_2183:
	s_andn2_b64 vcc, exec, s[6:7]
	s_cbranch_vccnz .LBB19_2191
; %bb.2184:
	v_and_b32_e32 v2, 0x7fffffff, v14
	s_mov_b32 s6, 0x43800000
	v_cmp_gt_u32_e32 vcc, s6, v2
	v_mov_b32_e32 v3, 0x80
	s_and_saveexec_b64 s[6:7], vcc
	s_cbranch_execz .LBB19_2190
; %bb.2185:
	s_mov_b32 s8, 0x3bffffff
	v_cmp_lt_u32_e32 vcc, s8, v2
	s_mov_b64 s[8:9], 0
                                        ; implicit-def: $vgpr2
	s_and_saveexec_b64 s[10:11], vcc
	s_xor_b64 s[10:11], exec, s[10:11]
	s_cbranch_execz .LBB19_2252
; %bb.2186:
	v_bfe_u32 v2, v14, 20, 1
	s_mov_b32 s13, 0x487ffff
	v_add3_u32 v2, v14, v2, s13
	s_mov_b64 s[8:9], exec
	v_lshrrev_b32_e32 v2, 20, v2
	s_andn2_saveexec_b64 s[10:11], s[10:11]
	s_cbranch_execnz .LBB19_2253
.LBB19_2187:
	s_or_b64 exec, exec, s[10:11]
	v_mov_b32_e32 v3, 0
	s_and_saveexec_b64 s[10:11], s[8:9]
.LBB19_2188:
	v_lshrrev_b32_e32 v3, 24, v14
	s_movk_i32 s8, 0x80
	v_and_or_b32 v3, v3, s8, v2
.LBB19_2189:
	s_or_b64 exec, exec, s[10:11]
.LBB19_2190:
	s_or_b64 exec, exec, s[6:7]
	global_store_byte v[0:1], v3, off
.LBB19_2191:
	s_mov_b64 s[6:7], 0
.LBB19_2192:
	s_and_b64 vcc, exec, s[6:7]
	s_cbranch_vccz .LBB19_2232
; %bb.2193:
	s_cmp_gt_i32 s12, 22
	s_mov_b64 s[4:5], -1
	s_cbranch_scc0 .LBB19_2225
; %bb.2194:
	s_cmp_lt_i32 s12, 24
	s_cbranch_scc1 .LBB19_2214
; %bb.2195:
	s_cmp_gt_i32 s12, 24
	s_cbranch_scc0 .LBB19_2203
; %bb.2196:
	v_and_b32_e32 v2, 0x7fffffff, v14
	s_mov_b32 s4, 0x47800000
	v_cmp_gt_u32_e32 vcc, s4, v2
	v_mov_b32_e32 v3, 0x80
	s_and_saveexec_b64 s[4:5], vcc
	s_cbranch_execz .LBB19_2202
; %bb.2197:
	s_mov_b32 s6, 0x37ffffff
	v_cmp_lt_u32_e32 vcc, s6, v2
	s_mov_b64 s[6:7], 0
                                        ; implicit-def: $vgpr2
	s_and_saveexec_b64 s[8:9], vcc
	s_xor_b64 s[8:9], exec, s[8:9]
	s_cbranch_execz .LBB19_2255
; %bb.2198:
	v_bfe_u32 v2, v14, 21, 1
	s_mov_b32 s10, 0x88fffff
	v_add3_u32 v2, v14, v2, s10
	s_mov_b64 s[6:7], exec
	v_lshrrev_b32_e32 v2, 21, v2
	s_andn2_saveexec_b64 s[8:9], s[8:9]
	s_cbranch_execnz .LBB19_2256
.LBB19_2199:
	s_or_b64 exec, exec, s[8:9]
	v_mov_b32_e32 v3, 0
	s_and_saveexec_b64 s[8:9], s[6:7]
.LBB19_2200:
	v_lshrrev_b32_e32 v3, 24, v14
	s_movk_i32 s6, 0x80
	v_and_or_b32 v3, v3, s6, v2
.LBB19_2201:
	s_or_b64 exec, exec, s[8:9]
.LBB19_2202:
	s_or_b64 exec, exec, s[4:5]
	s_mov_b64 s[4:5], 0
	global_store_byte v[0:1], v3, off
.LBB19_2203:
	s_and_b64 vcc, exec, s[4:5]
	s_cbranch_vccz .LBB19_2213
; %bb.2204:
	v_and_b32_e32 v3, 0x7fffffff, v14
	s_mov_b32 s4, 0x43f00000
	v_cmp_gt_u32_e32 vcc, s4, v3
                                        ; implicit-def: $vgpr2
	s_and_saveexec_b64 s[4:5], vcc
	s_xor_b64 s[4:5], exec, s[4:5]
	s_cbranch_execz .LBB19_2210
; %bb.2205:
	s_mov_b32 s6, 0x3c7fffff
	v_cmp_lt_u32_e32 vcc, s6, v3
                                        ; implicit-def: $vgpr2
	s_and_saveexec_b64 s[6:7], vcc
	s_xor_b64 s[6:7], exec, s[6:7]
; %bb.2206:
	v_bfe_u32 v2, v14, 20, 1
	s_mov_b32 s8, 0x407ffff
	v_add3_u32 v2, v14, v2, s8
	v_lshrrev_b32_e32 v3, 20, v2
	v_and_b32_e32 v2, 0xff00000, v2
	s_mov_b32 s8, 0x7f00000
	v_mov_b32_e32 v4, 0x7e
	v_cmp_ne_u32_e32 vcc, s8, v2
	s_nop 1
	v_cndmask_b32_e32 v2, v4, v3, vcc
; %bb.2207:
	s_andn2_saveexec_b64 s[6:7], s[6:7]
; %bb.2208:
	s_mov_b32 s8, 0x46800000
	v_add_f32_e64 v2, |v14|, s8
; %bb.2209:
	s_or_b64 exec, exec, s[6:7]
                                        ; implicit-def: $vgpr3
.LBB19_2210:
	s_andn2_saveexec_b64 s[4:5], s[4:5]
; %bb.2211:
	s_mov_b32 s6, 0x7f800000
	v_mov_b32_e32 v2, 0x7e
	v_mov_b32_e32 v4, 0x7f
	v_cmp_lt_u32_e32 vcc, s6, v3
	s_nop 1
	v_cndmask_b32_e32 v2, v2, v4, vcc
; %bb.2212:
	s_or_b64 exec, exec, s[4:5]
	v_lshrrev_b32_e32 v3, 24, v14
	s_movk_i32 s4, 0x80
	v_and_or_b32 v2, v3, s4, v2
	global_store_byte v[0:1], v2, off
.LBB19_2213:
	s_mov_b64 s[4:5], 0
.LBB19_2214:
	s_andn2_b64 vcc, exec, s[4:5]
	s_cbranch_vccnz .LBB19_2224
; %bb.2215:
	v_and_b32_e32 v3, 0x7fffffff, v14
	s_mov_b32 s4, 0x47800000
	v_cmp_gt_u32_e32 vcc, s4, v3
                                        ; implicit-def: $vgpr2
	s_and_saveexec_b64 s[4:5], vcc
	s_xor_b64 s[4:5], exec, s[4:5]
	s_cbranch_execz .LBB19_2221
; %bb.2216:
	s_mov_b32 s6, 0x387fffff
	v_cmp_lt_u32_e32 vcc, s6, v3
                                        ; implicit-def: $vgpr2
	s_and_saveexec_b64 s[6:7], vcc
	s_xor_b64 s[6:7], exec, s[6:7]
; %bb.2217:
	v_bfe_u32 v2, v14, 21, 1
	s_mov_b32 s8, 0x80fffff
	v_add3_u32 v2, v14, v2, s8
	v_lshrrev_b32_e32 v2, 21, v2
; %bb.2218:
	s_andn2_saveexec_b64 s[6:7], s[6:7]
; %bb.2219:
	s_mov_b32 s8, 0x43000000
	v_add_f32_e64 v2, |v14|, s8
; %bb.2220:
	s_or_b64 exec, exec, s[6:7]
                                        ; implicit-def: $vgpr3
.LBB19_2221:
	s_andn2_saveexec_b64 s[4:5], s[4:5]
; %bb.2222:
	s_mov_b32 s6, 0x7f800000
	v_mov_b32_e32 v2, 0x7c
	v_mov_b32_e32 v4, 0x7f
	v_cmp_lt_u32_e32 vcc, s6, v3
	s_nop 1
	v_cndmask_b32_e32 v2, v2, v4, vcc
; %bb.2223:
	s_or_b64 exec, exec, s[4:5]
	v_lshrrev_b32_e32 v3, 24, v14
	s_movk_i32 s4, 0x80
	v_and_or_b32 v2, v3, s4, v2
	global_store_byte v[0:1], v2, off
.LBB19_2224:
	s_mov_b64 s[4:5], 0
.LBB19_2225:
	s_andn2_b64 vcc, exec, s[4:5]
	s_mov_b64 s[4:5], 0
	s_cbranch_vccnz .LBB19_2232
; %bb.2226:
	s_cmp_gt_i32 s12, 14
	s_mov_b64 s[6:7], -1
	s_cbranch_scc0 .LBB19_2230
; %bb.2227:
	s_cmp_eq_u32 s12, 15
	s_mov_b64 s[0:1], -1
	s_cbranch_scc0 .LBB19_2229
; %bb.2228:
	v_bfe_u32 v2, v14, 16, 1
	s_movk_i32 s0, 0x7fff
	v_add3_u32 v2, v14, v2, s0
	v_cmp_o_f32_e32 vcc, v14, v14
	v_mov_b32_e32 v3, 0x7fc0
	s_mov_b64 s[0:1], 0
	v_cndmask_b32_sdwa v2, v3, v2, vcc dst_sel:DWORD dst_unused:UNUSED_PAD src0_sel:DWORD src1_sel:WORD_1
	global_store_short v[0:1], v2, off
.LBB19_2229:
	s_mov_b64 s[6:7], 0
.LBB19_2230:
	s_and_b64 vcc, exec, s[6:7]
	s_cbranch_vccz .LBB19_2232
; %bb.2231:
	s_cmp_lg_u32 s12, 11
	s_mov_b64 s[4:5], -1
	s_cselect_b64 s[0:1], -1, 0
.LBB19_2232:
	s_and_b64 vcc, exec, s[0:1]
	s_cbranch_vccnz .LBB19_2254
.LBB19_2233:
	s_mov_b64 s[0:1], 0
	s_branch .LBB19_1835
.LBB19_2234:
	s_mov_b64 s[0:1], 0
                                        ; implicit-def: $vgpr0_vgpr1
                                        ; implicit-def: $sgpr14
	s_branch .LBB19_1834
.LBB19_2235:
	s_mov_b64 s[4:5], 0
	s_mov_b64 s[0:1], -1
	s_branch .LBB19_1835
.LBB19_2236:
	s_trap 2
	s_or_b64 s[2:3], s[2:3], exec
	s_cbranch_execz .LBB19_1691
	s_branch .LBB19_1692
.LBB19_2237:
	s_andn2_saveexec_b64 s[12:13], s[12:13]
	s_cbranch_execz .LBB19_1783
.LBB19_2238:
	s_mov_b32 s17, 0x46000000
	v_add_f32_e64 v1, |v8|, s17
	v_and_b32_e32 v1, 0xff, v1
	v_cmp_ne_u32_e32 vcc, 0, v1
	s_andn2_b64 s[10:11], s[10:11], exec
	s_and_b64 s[18:19], vcc, exec
	s_or_b64 s[10:11], s[10:11], s[18:19]
	s_or_b64 exec, exec, s[12:13]
	v_mov_b32_e32 v3, 0
	s_and_saveexec_b64 s[12:13], s[10:11]
	s_cbranch_execnz .LBB19_1784
	s_branch .LBB19_1785
.LBB19_2239:
	s_trap 2
	s_or_b64 s[2:3], s[2:3], exec
	s_cbranch_execz .LBB19_1831
	s_branch .LBB19_1832
.LBB19_2240:
	s_andn2_saveexec_b64 s[10:11], s[10:11]
	s_cbranch_execz .LBB19_1796
.LBB19_2241:
	s_mov_b32 s12, 0x42800000
	v_add_f32_e64 v1, |v8|, s12
	v_and_b32_e32 v1, 0xff, v1
	v_cmp_ne_u32_e32 vcc, 0, v1
	s_andn2_b64 s[8:9], s[8:9], exec
	s_and_b64 s[12:13], vcc, exec
	s_or_b64 s[8:9], s[8:9], s[12:13]
	s_or_b64 exec, exec, s[10:11]
	v_mov_b32_e32 v3, 0
	s_and_saveexec_b64 s[10:11], s[8:9]
	s_cbranch_execnz .LBB19_1797
	s_branch .LBB19_1798
.LBB19_2242:
	s_andn2_saveexec_b64 s[12:13], s[12:13]
	s_cbranch_execz .LBB19_1948
.LBB19_2243:
	s_mov_b32 s16, 0x46000000
	v_add_f32_e64 v1, |v10|, s16
	v_and_b32_e32 v1, 0xff, v1
	v_cmp_ne_u32_e32 vcc, 0, v1
	s_andn2_b64 s[10:11], s[10:11], exec
	s_and_b64 s[16:17], vcc, exec
	s_or_b64 s[10:11], s[10:11], s[16:17]
	s_or_b64 exec, exec, s[12:13]
	v_mov_b32_e32 v3, 0
	s_and_saveexec_b64 s[12:13], s[10:11]
	s_cbranch_execnz .LBB19_1949
	s_branch .LBB19_1950
.LBB19_2244:
	s_trap 2
	s_or_b64 s[2:3], s[2:3], exec
	s_cbranch_execz .LBB19_1996
	s_branch .LBB19_1997
.LBB19_2245:
	s_andn2_saveexec_b64 s[10:11], s[10:11]
	s_cbranch_execz .LBB19_1961
.LBB19_2246:
	s_mov_b32 s12, 0x42800000
	v_add_f32_e64 v1, |v10|, s12
	v_and_b32_e32 v1, 0xff, v1
	v_cmp_ne_u32_e32 vcc, 0, v1
	s_andn2_b64 s[8:9], s[8:9], exec
	s_and_b64 s[12:13], vcc, exec
	s_or_b64 s[8:9], s[8:9], s[12:13]
	s_or_b64 exec, exec, s[10:11]
	v_mov_b32_e32 v3, 0
	s_and_saveexec_b64 s[10:11], s[8:9]
	s_cbranch_execnz .LBB19_1962
	s_branch .LBB19_1963
.LBB19_2247:
	s_andn2_saveexec_b64 s[12:13], s[12:13]
	s_cbranch_execz .LBB19_2067
.LBB19_2248:
	s_mov_b32 s16, 0x46000000
	v_add_f32_e64 v1, |v12|, s16
	v_and_b32_e32 v1, 0xff, v1
	v_cmp_ne_u32_e32 vcc, 0, v1
	s_andn2_b64 s[10:11], s[10:11], exec
	s_and_b64 s[16:17], vcc, exec
	s_or_b64 s[10:11], s[10:11], s[16:17]
	s_or_b64 exec, exec, s[12:13]
	v_mov_b32_e32 v4, 0
	s_and_saveexec_b64 s[12:13], s[10:11]
	s_cbranch_execnz .LBB19_2068
	s_branch .LBB19_2069
.LBB19_2249:
	s_trap 2
	s_or_b64 s[2:3], s[2:3], exec
	s_cbranch_execz .LBB19_2115
	s_branch .LBB19_2116
.LBB19_2250:
	s_andn2_saveexec_b64 s[10:11], s[10:11]
	s_cbranch_execz .LBB19_2080
.LBB19_2251:
	s_mov_b32 s12, 0x42800000
	v_add_f32_e64 v1, |v12|, s12
	v_and_b32_e32 v1, 0xff, v1
	v_cmp_ne_u32_e32 vcc, 0, v1
	s_andn2_b64 s[8:9], s[8:9], exec
	s_and_b64 s[12:13], vcc, exec
	s_or_b64 s[8:9], s[8:9], s[12:13]
	s_or_b64 exec, exec, s[10:11]
	v_mov_b32_e32 v4, 0
	s_and_saveexec_b64 s[10:11], s[8:9]
	s_cbranch_execnz .LBB19_2081
	s_branch .LBB19_2082
.LBB19_2252:
	s_andn2_saveexec_b64 s[10:11], s[10:11]
	s_cbranch_execz .LBB19_2187
.LBB19_2253:
	s_mov_b32 s13, 0x46000000
	v_add_f32_e64 v2, |v14|, s13
	v_and_b32_e32 v2, 0xff, v2
	v_cmp_ne_u32_e32 vcc, 0, v2
	s_andn2_b64 s[8:9], s[8:9], exec
	s_and_b64 s[16:17], vcc, exec
	s_or_b64 s[8:9], s[8:9], s[16:17]
	s_or_b64 exec, exec, s[10:11]
	v_mov_b32_e32 v3, 0
	s_and_saveexec_b64 s[10:11], s[8:9]
	s_cbranch_execnz .LBB19_2188
	s_branch .LBB19_2189
.LBB19_2254:
	s_mov_b64 s[4:5], 0
	s_or_b64 s[2:3], s[2:3], exec
	s_trap 2
	s_branch .LBB19_2233
.LBB19_2255:
	s_andn2_saveexec_b64 s[8:9], s[8:9]
	s_cbranch_execz .LBB19_2199
.LBB19_2256:
	s_mov_b32 s10, 0x42800000
	v_add_f32_e64 v2, |v14|, s10
	v_and_b32_e32 v2, 0xff, v2
	v_cmp_ne_u32_e32 vcc, 0, v2
	s_andn2_b64 s[6:7], s[6:7], exec
	s_and_b64 s[10:11], vcc, exec
	s_or_b64 s[6:7], s[6:7], s[10:11]
	s_or_b64 exec, exec, s[8:9]
	v_mov_b32_e32 v3, 0
	s_and_saveexec_b64 s[8:9], s[6:7]
	s_cbranch_execnz .LBB19_2200
	s_branch .LBB19_2201
	.section	.rodata,"a",@progbits
	.p2align	6, 0x0
	.amdhsa_kernel _ZN2at6native32elementwise_kernel_manual_unrollILi128ELi4EZNS0_15gpu_kernel_implIZZZNS0_12_GLOBAL__N_130modified_bessel_i1_kernel_cudaERNS_18TensorIteratorBaseEENKUlvE_clEvENKUlvE0_clEvEUlfE_EEvS5_RKT_EUlibE0_EEviT1_
		.amdhsa_group_segment_fixed_size 0
		.amdhsa_private_segment_fixed_size 0
		.amdhsa_kernarg_size 360
		.amdhsa_user_sgpr_count 2
		.amdhsa_user_sgpr_dispatch_ptr 0
		.amdhsa_user_sgpr_queue_ptr 0
		.amdhsa_user_sgpr_kernarg_segment_ptr 1
		.amdhsa_user_sgpr_dispatch_id 0
		.amdhsa_user_sgpr_kernarg_preload_length 0
		.amdhsa_user_sgpr_kernarg_preload_offset 0
		.amdhsa_user_sgpr_private_segment_size 0
		.amdhsa_uses_dynamic_stack 0
		.amdhsa_enable_private_segment 0
		.amdhsa_system_sgpr_workgroup_id_x 1
		.amdhsa_system_sgpr_workgroup_id_y 0
		.amdhsa_system_sgpr_workgroup_id_z 0
		.amdhsa_system_sgpr_workgroup_info 0
		.amdhsa_system_vgpr_workitem_id 0
		.amdhsa_next_free_vgpr 20
		.amdhsa_next_free_sgpr 78
		.amdhsa_accum_offset 20
		.amdhsa_reserve_vcc 1
		.amdhsa_float_round_mode_32 0
		.amdhsa_float_round_mode_16_64 0
		.amdhsa_float_denorm_mode_32 3
		.amdhsa_float_denorm_mode_16_64 3
		.amdhsa_dx10_clamp 1
		.amdhsa_ieee_mode 1
		.amdhsa_fp16_overflow 0
		.amdhsa_tg_split 0
		.amdhsa_exception_fp_ieee_invalid_op 0
		.amdhsa_exception_fp_denorm_src 0
		.amdhsa_exception_fp_ieee_div_zero 0
		.amdhsa_exception_fp_ieee_overflow 0
		.amdhsa_exception_fp_ieee_underflow 0
		.amdhsa_exception_fp_ieee_inexact 0
		.amdhsa_exception_int_div_zero 0
	.end_amdhsa_kernel
	.section	.text._ZN2at6native32elementwise_kernel_manual_unrollILi128ELi4EZNS0_15gpu_kernel_implIZZZNS0_12_GLOBAL__N_130modified_bessel_i1_kernel_cudaERNS_18TensorIteratorBaseEENKUlvE_clEvENKUlvE0_clEvEUlfE_EEvS5_RKT_EUlibE0_EEviT1_,"axG",@progbits,_ZN2at6native32elementwise_kernel_manual_unrollILi128ELi4EZNS0_15gpu_kernel_implIZZZNS0_12_GLOBAL__N_130modified_bessel_i1_kernel_cudaERNS_18TensorIteratorBaseEENKUlvE_clEvENKUlvE0_clEvEUlfE_EEvS5_RKT_EUlibE0_EEviT1_,comdat
.Lfunc_end19:
	.size	_ZN2at6native32elementwise_kernel_manual_unrollILi128ELi4EZNS0_15gpu_kernel_implIZZZNS0_12_GLOBAL__N_130modified_bessel_i1_kernel_cudaERNS_18TensorIteratorBaseEENKUlvE_clEvENKUlvE0_clEvEUlfE_EEvS5_RKT_EUlibE0_EEviT1_, .Lfunc_end19-_ZN2at6native32elementwise_kernel_manual_unrollILi128ELi4EZNS0_15gpu_kernel_implIZZZNS0_12_GLOBAL__N_130modified_bessel_i1_kernel_cudaERNS_18TensorIteratorBaseEENKUlvE_clEvENKUlvE0_clEvEUlfE_EEvS5_RKT_EUlibE0_EEviT1_
                                        ; -- End function
	.set _ZN2at6native32elementwise_kernel_manual_unrollILi128ELi4EZNS0_15gpu_kernel_implIZZZNS0_12_GLOBAL__N_130modified_bessel_i1_kernel_cudaERNS_18TensorIteratorBaseEENKUlvE_clEvENKUlvE0_clEvEUlfE_EEvS5_RKT_EUlibE0_EEviT1_.num_vgpr, 20
	.set _ZN2at6native32elementwise_kernel_manual_unrollILi128ELi4EZNS0_15gpu_kernel_implIZZZNS0_12_GLOBAL__N_130modified_bessel_i1_kernel_cudaERNS_18TensorIteratorBaseEENKUlvE_clEvENKUlvE0_clEvEUlfE_EEvS5_RKT_EUlibE0_EEviT1_.num_agpr, 0
	.set _ZN2at6native32elementwise_kernel_manual_unrollILi128ELi4EZNS0_15gpu_kernel_implIZZZNS0_12_GLOBAL__N_130modified_bessel_i1_kernel_cudaERNS_18TensorIteratorBaseEENKUlvE_clEvENKUlvE0_clEvEUlfE_EEvS5_RKT_EUlibE0_EEviT1_.numbered_sgpr, 78
	.set _ZN2at6native32elementwise_kernel_manual_unrollILi128ELi4EZNS0_15gpu_kernel_implIZZZNS0_12_GLOBAL__N_130modified_bessel_i1_kernel_cudaERNS_18TensorIteratorBaseEENKUlvE_clEvENKUlvE0_clEvEUlfE_EEvS5_RKT_EUlibE0_EEviT1_.num_named_barrier, 0
	.set _ZN2at6native32elementwise_kernel_manual_unrollILi128ELi4EZNS0_15gpu_kernel_implIZZZNS0_12_GLOBAL__N_130modified_bessel_i1_kernel_cudaERNS_18TensorIteratorBaseEENKUlvE_clEvENKUlvE0_clEvEUlfE_EEvS5_RKT_EUlibE0_EEviT1_.private_seg_size, 0
	.set _ZN2at6native32elementwise_kernel_manual_unrollILi128ELi4EZNS0_15gpu_kernel_implIZZZNS0_12_GLOBAL__N_130modified_bessel_i1_kernel_cudaERNS_18TensorIteratorBaseEENKUlvE_clEvENKUlvE0_clEvEUlfE_EEvS5_RKT_EUlibE0_EEviT1_.uses_vcc, 1
	.set _ZN2at6native32elementwise_kernel_manual_unrollILi128ELi4EZNS0_15gpu_kernel_implIZZZNS0_12_GLOBAL__N_130modified_bessel_i1_kernel_cudaERNS_18TensorIteratorBaseEENKUlvE_clEvENKUlvE0_clEvEUlfE_EEvS5_RKT_EUlibE0_EEviT1_.uses_flat_scratch, 0
	.set _ZN2at6native32elementwise_kernel_manual_unrollILi128ELi4EZNS0_15gpu_kernel_implIZZZNS0_12_GLOBAL__N_130modified_bessel_i1_kernel_cudaERNS_18TensorIteratorBaseEENKUlvE_clEvENKUlvE0_clEvEUlfE_EEvS5_RKT_EUlibE0_EEviT1_.has_dyn_sized_stack, 0
	.set _ZN2at6native32elementwise_kernel_manual_unrollILi128ELi4EZNS0_15gpu_kernel_implIZZZNS0_12_GLOBAL__N_130modified_bessel_i1_kernel_cudaERNS_18TensorIteratorBaseEENKUlvE_clEvENKUlvE0_clEvEUlfE_EEvS5_RKT_EUlibE0_EEviT1_.has_recursion, 0
	.set _ZN2at6native32elementwise_kernel_manual_unrollILi128ELi4EZNS0_15gpu_kernel_implIZZZNS0_12_GLOBAL__N_130modified_bessel_i1_kernel_cudaERNS_18TensorIteratorBaseEENKUlvE_clEvENKUlvE0_clEvEUlfE_EEvS5_RKT_EUlibE0_EEviT1_.has_indirect_call, 0
	.section	.AMDGPU.csdata,"",@progbits
; Kernel info:
; codeLenInByte = 52068
; TotalNumSgprs: 84
; NumVgprs: 20
; NumAgprs: 0
; TotalNumVgprs: 20
; ScratchSize: 0
; MemoryBound: 1
; FloatMode: 240
; IeeeMode: 1
; LDSByteSize: 0 bytes/workgroup (compile time only)
; SGPRBlocks: 10
; VGPRBlocks: 2
; NumSGPRsForWavesPerEU: 84
; NumVGPRsForWavesPerEU: 20
; AccumOffset: 20
; Occupancy: 8
; WaveLimiterHint : 1
; COMPUTE_PGM_RSRC2:SCRATCH_EN: 0
; COMPUTE_PGM_RSRC2:USER_SGPR: 2
; COMPUTE_PGM_RSRC2:TRAP_HANDLER: 0
; COMPUTE_PGM_RSRC2:TGID_X_EN: 1
; COMPUTE_PGM_RSRC2:TGID_Y_EN: 0
; COMPUTE_PGM_RSRC2:TGID_Z_EN: 0
; COMPUTE_PGM_RSRC2:TIDIG_COMP_CNT: 0
; COMPUTE_PGM_RSRC3_GFX90A:ACCUM_OFFSET: 4
; COMPUTE_PGM_RSRC3_GFX90A:TG_SPLIT: 0
	.text
	.p2alignl 6, 3212836864
	.fill 256, 4, 3212836864
	.section	.AMDGPU.gpr_maximums,"",@progbits
	.set amdgpu.max_num_vgpr, 32
	.set amdgpu.max_num_agpr, 0
	.set amdgpu.max_num_sgpr, 32
	.text
	.type	__hip_cuid_791cf1625faae982,@object ; @__hip_cuid_791cf1625faae982
	.section	.bss,"aw",@nobits
	.globl	__hip_cuid_791cf1625faae982
__hip_cuid_791cf1625faae982:
	.byte	0                               ; 0x0
	.size	__hip_cuid_791cf1625faae982, 1

	.ident	"AMD clang version 22.0.0git (https://github.com/RadeonOpenCompute/llvm-project roc-7.2.4 26084 f58b06dce1f9c15707c5f808fd002e18c2accf7e)"
	.section	".note.GNU-stack","",@progbits
	.addrsig
	.addrsig_sym __hip_cuid_791cf1625faae982
	.amdgpu_metadata
---
amdhsa.kernels:
  - .agpr_count:     0
    .args:
      - .offset:         0
        .size:           4
        .value_kind:     by_value
      - .offset:         4
        .size:           1
        .value_kind:     by_value
      - .offset:         8
        .size:           16
        .value_kind:     by_value
    .group_segment_fixed_size: 0
    .kernarg_segment_align: 8
    .kernarg_segment_size: 24
    .language:       OpenCL C
    .language_version:
      - 2
      - 0
    .max_flat_workgroup_size: 256
    .name:           _ZN2at6native29vectorized_elementwise_kernelILi16EZZZNS0_12_GLOBAL__N_130modified_bessel_i1_kernel_cudaERNS_18TensorIteratorBaseEENKUlvE_clEvENKUlvE_clEvEUldE_St5arrayIPcLm2EEEEviT0_T1_
    .private_segment_fixed_size: 0
    .sgpr_count:     39
    .sgpr_spill_count: 0
    .symbol:         _ZN2at6native29vectorized_elementwise_kernelILi16EZZZNS0_12_GLOBAL__N_130modified_bessel_i1_kernel_cudaERNS_18TensorIteratorBaseEENKUlvE_clEvENKUlvE_clEvEUldE_St5arrayIPcLm2EEEEviT0_T1_.kd
    .uniform_work_group_size: 1
    .uses_dynamic_stack: false
    .vgpr_count:     32
    .vgpr_spill_count: 0
    .wavefront_size: 64
  - .agpr_count:     0
    .args:
      - .offset:         0
        .size:           4
        .value_kind:     by_value
      - .offset:         4
        .size:           1
        .value_kind:     by_value
      - .offset:         8
        .size:           16
        .value_kind:     by_value
    .group_segment_fixed_size: 0
    .kernarg_segment_align: 8
    .kernarg_segment_size: 24
    .language:       OpenCL C
    .language_version:
      - 2
      - 0
    .max_flat_workgroup_size: 256
    .name:           _ZN2at6native29vectorized_elementwise_kernelILi8EZZZNS0_12_GLOBAL__N_130modified_bessel_i1_kernel_cudaERNS_18TensorIteratorBaseEENKUlvE_clEvENKUlvE_clEvEUldE_St5arrayIPcLm2EEEEviT0_T1_
    .private_segment_fixed_size: 0
    .sgpr_count:     39
    .sgpr_spill_count: 0
    .symbol:         _ZN2at6native29vectorized_elementwise_kernelILi8EZZZNS0_12_GLOBAL__N_130modified_bessel_i1_kernel_cudaERNS_18TensorIteratorBaseEENKUlvE_clEvENKUlvE_clEvEUldE_St5arrayIPcLm2EEEEviT0_T1_.kd
    .uniform_work_group_size: 1
    .uses_dynamic_stack: false
    .vgpr_count:     32
    .vgpr_spill_count: 0
    .wavefront_size: 64
  - .agpr_count:     0
    .args:
      - .offset:         0
        .size:           4
        .value_kind:     by_value
      - .offset:         4
        .size:           1
        .value_kind:     by_value
      - .offset:         8
        .size:           16
        .value_kind:     by_value
    .group_segment_fixed_size: 0
    .kernarg_segment_align: 8
    .kernarg_segment_size: 24
    .language:       OpenCL C
    .language_version:
      - 2
      - 0
    .max_flat_workgroup_size: 256
    .name:           _ZN2at6native29vectorized_elementwise_kernelILi4EZZZNS0_12_GLOBAL__N_130modified_bessel_i1_kernel_cudaERNS_18TensorIteratorBaseEENKUlvE_clEvENKUlvE_clEvEUldE_St5arrayIPcLm2EEEEviT0_T1_
    .private_segment_fixed_size: 0
    .sgpr_count:     39
    .sgpr_spill_count: 0
    .symbol:         _ZN2at6native29vectorized_elementwise_kernelILi4EZZZNS0_12_GLOBAL__N_130modified_bessel_i1_kernel_cudaERNS_18TensorIteratorBaseEENKUlvE_clEvENKUlvE_clEvEUldE_St5arrayIPcLm2EEEEviT0_T1_.kd
    .uniform_work_group_size: 1
    .uses_dynamic_stack: false
    .vgpr_count:     32
    .vgpr_spill_count: 0
    .wavefront_size: 64
  - .agpr_count:     0
    .args:
      - .offset:         0
        .size:           4
        .value_kind:     by_value
      - .offset:         4
        .size:           1
        .value_kind:     by_value
      - .offset:         8
        .size:           16
        .value_kind:     by_value
    .group_segment_fixed_size: 0
    .kernarg_segment_align: 8
    .kernarg_segment_size: 24
    .language:       OpenCL C
    .language_version:
      - 2
      - 0
    .max_flat_workgroup_size: 256
    .name:           _ZN2at6native29vectorized_elementwise_kernelILi2EZZZNS0_12_GLOBAL__N_130modified_bessel_i1_kernel_cudaERNS_18TensorIteratorBaseEENKUlvE_clEvENKUlvE_clEvEUldE_St5arrayIPcLm2EEEEviT0_T1_
    .private_segment_fixed_size: 0
    .sgpr_count:     39
    .sgpr_spill_count: 0
    .symbol:         _ZN2at6native29vectorized_elementwise_kernelILi2EZZZNS0_12_GLOBAL__N_130modified_bessel_i1_kernel_cudaERNS_18TensorIteratorBaseEENKUlvE_clEvENKUlvE_clEvEUldE_St5arrayIPcLm2EEEEviT0_T1_.kd
    .uniform_work_group_size: 1
    .uses_dynamic_stack: false
    .vgpr_count:     32
    .vgpr_spill_count: 0
    .wavefront_size: 64
  - .agpr_count:     0
    .args:
      - .offset:         0
        .size:           4
        .value_kind:     by_value
      - .offset:         4
        .size:           1
        .value_kind:     by_value
      - .offset:         8
        .size:           16
        .value_kind:     by_value
      - .offset:         24
        .size:           1
        .value_kind:     by_value
      - .offset:         25
        .size:           1
        .value_kind:     by_value
      - .offset:         26
        .size:           1
        .value_kind:     by_value
      - .offset:         27
        .size:           1
        .value_kind:     by_value
    .group_segment_fixed_size: 0
    .kernarg_segment_align: 8
    .kernarg_segment_size: 28
    .language:       OpenCL C
    .language_version:
      - 2
      - 0
    .max_flat_workgroup_size: 256
    .name:           _ZN2at6native27unrolled_elementwise_kernelIZZZNS0_12_GLOBAL__N_130modified_bessel_i1_kernel_cudaERNS_18TensorIteratorBaseEENKUlvE_clEvENKUlvE_clEvEUldE_St5arrayIPcLm2EELi4E23TrivialOffsetCalculatorILi1EjESC_NS0_6memory15LoadWithoutCastENSD_16StoreWithoutCastEEEviT_T0_T2_T3_T4_T5_
    .private_segment_fixed_size: 0
    .sgpr_count:     39
    .sgpr_spill_count: 0
    .symbol:         _ZN2at6native27unrolled_elementwise_kernelIZZZNS0_12_GLOBAL__N_130modified_bessel_i1_kernel_cudaERNS_18TensorIteratorBaseEENKUlvE_clEvENKUlvE_clEvEUldE_St5arrayIPcLm2EELi4E23TrivialOffsetCalculatorILi1EjESC_NS0_6memory15LoadWithoutCastENSD_16StoreWithoutCastEEEviT_T0_T2_T3_T4_T5_.kd
    .uniform_work_group_size: 1
    .uses_dynamic_stack: false
    .vgpr_count:     32
    .vgpr_spill_count: 0
    .wavefront_size: 64
  - .agpr_count:     0
    .args:
      - .offset:         0
        .size:           4
        .value_kind:     by_value
      - .offset:         8
        .size:           352
        .value_kind:     by_value
    .group_segment_fixed_size: 0
    .kernarg_segment_align: 8
    .kernarg_segment_size: 360
    .language:       OpenCL C
    .language_version:
      - 2
      - 0
    .max_flat_workgroup_size: 128
    .name:           _ZN2at6native32elementwise_kernel_manual_unrollILi128ELi4EZNS0_22gpu_kernel_impl_nocastIZZZNS0_12_GLOBAL__N_130modified_bessel_i1_kernel_cudaERNS_18TensorIteratorBaseEENKUlvE_clEvENKUlvE_clEvEUldE_EEvS5_RKT_EUlibE_EEviT1_
    .private_segment_fixed_size: 0
    .sgpr_count:     66
    .sgpr_spill_count: 0
    .symbol:         _ZN2at6native32elementwise_kernel_manual_unrollILi128ELi4EZNS0_22gpu_kernel_impl_nocastIZZZNS0_12_GLOBAL__N_130modified_bessel_i1_kernel_cudaERNS_18TensorIteratorBaseEENKUlvE_clEvENKUlvE_clEvEUldE_EEvS5_RKT_EUlibE_EEviT1_.kd
    .uniform_work_group_size: 1
    .uses_dynamic_stack: false
    .vgpr_count:     28
    .vgpr_spill_count: 0
    .wavefront_size: 64
  - .agpr_count:     0
    .args:
      - .offset:         0
        .size:           4
        .value_kind:     by_value
      - .offset:         8
        .size:           32
        .value_kind:     by_value
    .group_segment_fixed_size: 0
    .kernarg_segment_align: 8
    .kernarg_segment_size: 40
    .language:       OpenCL C
    .language_version:
      - 2
      - 0
    .max_flat_workgroup_size: 128
    .name:           _ZN2at6native32elementwise_kernel_manual_unrollILi128ELi4EZNS0_15gpu_kernel_implIZZZNS0_12_GLOBAL__N_130modified_bessel_i1_kernel_cudaERNS_18TensorIteratorBaseEENKUlvE_clEvENKUlvE_clEvEUldE_EEvS5_RKT_EUlibE_EEviT1_
    .private_segment_fixed_size: 0
    .sgpr_count:     50
    .sgpr_spill_count: 0
    .symbol:         _ZN2at6native32elementwise_kernel_manual_unrollILi128ELi4EZNS0_15gpu_kernel_implIZZZNS0_12_GLOBAL__N_130modified_bessel_i1_kernel_cudaERNS_18TensorIteratorBaseEENKUlvE_clEvENKUlvE_clEvEUldE_EEvS5_RKT_EUlibE_EEviT1_.kd
    .uniform_work_group_size: 1
    .uses_dynamic_stack: false
    .vgpr_count:     22
    .vgpr_spill_count: 0
    .wavefront_size: 64
  - .agpr_count:     0
    .args:
      - .offset:         0
        .size:           4
        .value_kind:     by_value
      - .offset:         8
        .size:           352
        .value_kind:     by_value
    .group_segment_fixed_size: 0
    .kernarg_segment_align: 8
    .kernarg_segment_size: 360
    .language:       OpenCL C
    .language_version:
      - 2
      - 0
    .max_flat_workgroup_size: 128
    .name:           _ZN2at6native32elementwise_kernel_manual_unrollILi128ELi4EZNS0_15gpu_kernel_implIZZZNS0_12_GLOBAL__N_130modified_bessel_i1_kernel_cudaERNS_18TensorIteratorBaseEENKUlvE_clEvENKUlvE_clEvEUldE_EEvS5_RKT_EUlibE0_EEviT1_
    .private_segment_fixed_size: 0
    .sgpr_count:     84
    .sgpr_spill_count: 0
    .symbol:         _ZN2at6native32elementwise_kernel_manual_unrollILi128ELi4EZNS0_15gpu_kernel_implIZZZNS0_12_GLOBAL__N_130modified_bessel_i1_kernel_cudaERNS_18TensorIteratorBaseEENKUlvE_clEvENKUlvE_clEvEUldE_EEvS5_RKT_EUlibE0_EEviT1_.kd
    .uniform_work_group_size: 1
    .uses_dynamic_stack: false
    .vgpr_count:     28
    .vgpr_spill_count: 0
    .wavefront_size: 64
  - .agpr_count:     0
    .args:
      - .offset:         0
        .size:           4
        .value_kind:     by_value
      - .offset:         4
        .size:           1
        .value_kind:     by_value
      - .offset:         8
        .size:           16
        .value_kind:     by_value
    .group_segment_fixed_size: 0
    .kernarg_segment_align: 8
    .kernarg_segment_size: 24
    .language:       OpenCL C
    .language_version:
      - 2
      - 0
    .max_flat_workgroup_size: 256
    .name:           _ZN2at6native29vectorized_elementwise_kernelILi16EZZZNS0_12_GLOBAL__N_130modified_bessel_i1_kernel_cudaERNS_18TensorIteratorBaseEENKUlvE_clEvENKUlvE0_clEvEUlfE_St5arrayIPcLm2EEEEviT0_T1_
    .private_segment_fixed_size: 0
    .sgpr_count:     39
    .sgpr_spill_count: 0
    .symbol:         _ZN2at6native29vectorized_elementwise_kernelILi16EZZZNS0_12_GLOBAL__N_130modified_bessel_i1_kernel_cudaERNS_18TensorIteratorBaseEENKUlvE_clEvENKUlvE0_clEvEUlfE_St5arrayIPcLm2EEEEviT0_T1_.kd
    .uniform_work_group_size: 1
    .uses_dynamic_stack: false
    .vgpr_count:     32
    .vgpr_spill_count: 0
    .wavefront_size: 64
  - .agpr_count:     0
    .args:
      - .offset:         0
        .size:           4
        .value_kind:     by_value
      - .offset:         4
        .size:           1
        .value_kind:     by_value
      - .offset:         8
        .size:           16
        .value_kind:     by_value
    .group_segment_fixed_size: 0
    .kernarg_segment_align: 8
    .kernarg_segment_size: 24
    .language:       OpenCL C
    .language_version:
      - 2
      - 0
    .max_flat_workgroup_size: 256
    .name:           _ZN2at6native29vectorized_elementwise_kernelILi8EZZZNS0_12_GLOBAL__N_130modified_bessel_i1_kernel_cudaERNS_18TensorIteratorBaseEENKUlvE_clEvENKUlvE0_clEvEUlfE_St5arrayIPcLm2EEEEviT0_T1_
    .private_segment_fixed_size: 0
    .sgpr_count:     39
    .sgpr_spill_count: 0
    .symbol:         _ZN2at6native29vectorized_elementwise_kernelILi8EZZZNS0_12_GLOBAL__N_130modified_bessel_i1_kernel_cudaERNS_18TensorIteratorBaseEENKUlvE_clEvENKUlvE0_clEvEUlfE_St5arrayIPcLm2EEEEviT0_T1_.kd
    .uniform_work_group_size: 1
    .uses_dynamic_stack: false
    .vgpr_count:     32
    .vgpr_spill_count: 0
    .wavefront_size: 64
  - .agpr_count:     0
    .args:
      - .offset:         0
        .size:           4
        .value_kind:     by_value
      - .offset:         4
        .size:           1
        .value_kind:     by_value
      - .offset:         8
        .size:           16
        .value_kind:     by_value
    .group_segment_fixed_size: 0
    .kernarg_segment_align: 8
    .kernarg_segment_size: 24
    .language:       OpenCL C
    .language_version:
      - 2
      - 0
    .max_flat_workgroup_size: 256
    .name:           _ZN2at6native29vectorized_elementwise_kernelILi4EZZZNS0_12_GLOBAL__N_130modified_bessel_i1_kernel_cudaERNS_18TensorIteratorBaseEENKUlvE_clEvENKUlvE0_clEvEUlfE_St5arrayIPcLm2EEEEviT0_T1_
    .private_segment_fixed_size: 0
    .sgpr_count:     39
    .sgpr_spill_count: 0
    .symbol:         _ZN2at6native29vectorized_elementwise_kernelILi4EZZZNS0_12_GLOBAL__N_130modified_bessel_i1_kernel_cudaERNS_18TensorIteratorBaseEENKUlvE_clEvENKUlvE0_clEvEUlfE_St5arrayIPcLm2EEEEviT0_T1_.kd
    .uniform_work_group_size: 1
    .uses_dynamic_stack: false
    .vgpr_count:     32
    .vgpr_spill_count: 0
    .wavefront_size: 64
  - .agpr_count:     0
    .args:
      - .offset:         0
        .size:           4
        .value_kind:     by_value
      - .offset:         4
        .size:           1
        .value_kind:     by_value
      - .offset:         8
        .size:           16
        .value_kind:     by_value
    .group_segment_fixed_size: 0
    .kernarg_segment_align: 8
    .kernarg_segment_size: 24
    .language:       OpenCL C
    .language_version:
      - 2
      - 0
    .max_flat_workgroup_size: 256
    .name:           _ZN2at6native29vectorized_elementwise_kernelILi2EZZZNS0_12_GLOBAL__N_130modified_bessel_i1_kernel_cudaERNS_18TensorIteratorBaseEENKUlvE_clEvENKUlvE0_clEvEUlfE_St5arrayIPcLm2EEEEviT0_T1_
    .private_segment_fixed_size: 0
    .sgpr_count:     39
    .sgpr_spill_count: 0
    .symbol:         _ZN2at6native29vectorized_elementwise_kernelILi2EZZZNS0_12_GLOBAL__N_130modified_bessel_i1_kernel_cudaERNS_18TensorIteratorBaseEENKUlvE_clEvENKUlvE0_clEvEUlfE_St5arrayIPcLm2EEEEviT0_T1_.kd
    .uniform_work_group_size: 1
    .uses_dynamic_stack: false
    .vgpr_count:     32
    .vgpr_spill_count: 0
    .wavefront_size: 64
  - .agpr_count:     0
    .args:
      - .offset:         0
        .size:           4
        .value_kind:     by_value
      - .offset:         4
        .size:           1
        .value_kind:     by_value
      - .offset:         8
        .size:           16
        .value_kind:     by_value
      - .offset:         24
        .size:           1
        .value_kind:     by_value
      - .offset:         25
        .size:           1
        .value_kind:     by_value
      - .offset:         26
        .size:           1
        .value_kind:     by_value
      - .offset:         27
        .size:           1
        .value_kind:     by_value
    .group_segment_fixed_size: 0
    .kernarg_segment_align: 8
    .kernarg_segment_size: 28
    .language:       OpenCL C
    .language_version:
      - 2
      - 0
    .max_flat_workgroup_size: 256
    .name:           _ZN2at6native27unrolled_elementwise_kernelIZZZNS0_12_GLOBAL__N_130modified_bessel_i1_kernel_cudaERNS_18TensorIteratorBaseEENKUlvE_clEvENKUlvE0_clEvEUlfE_St5arrayIPcLm2EELi4E23TrivialOffsetCalculatorILi1EjESC_NS0_6memory15LoadWithoutCastENSD_16StoreWithoutCastEEEviT_T0_T2_T3_T4_T5_
    .private_segment_fixed_size: 0
    .sgpr_count:     39
    .sgpr_spill_count: 0
    .symbol:         _ZN2at6native27unrolled_elementwise_kernelIZZZNS0_12_GLOBAL__N_130modified_bessel_i1_kernel_cudaERNS_18TensorIteratorBaseEENKUlvE_clEvENKUlvE0_clEvEUlfE_St5arrayIPcLm2EELi4E23TrivialOffsetCalculatorILi1EjESC_NS0_6memory15LoadWithoutCastENSD_16StoreWithoutCastEEEviT_T0_T2_T3_T4_T5_.kd
    .uniform_work_group_size: 1
    .uses_dynamic_stack: false
    .vgpr_count:     32
    .vgpr_spill_count: 0
    .wavefront_size: 64
  - .agpr_count:     0
    .args:
      - .offset:         0
        .size:           4
        .value_kind:     by_value
      - .offset:         8
        .size:           352
        .value_kind:     by_value
    .group_segment_fixed_size: 0
    .kernarg_segment_align: 8
    .kernarg_segment_size: 360
    .language:       OpenCL C
    .language_version:
      - 2
      - 0
    .max_flat_workgroup_size: 128
    .name:           _ZN2at6native32elementwise_kernel_manual_unrollILi128ELi4EZNS0_22gpu_kernel_impl_nocastIZZZNS0_12_GLOBAL__N_130modified_bessel_i1_kernel_cudaERNS_18TensorIteratorBaseEENKUlvE_clEvENKUlvE0_clEvEUlfE_EEvS5_RKT_EUlibE_EEviT1_
    .private_segment_fixed_size: 0
    .sgpr_count:     66
    .sgpr_spill_count: 0
    .symbol:         _ZN2at6native32elementwise_kernel_manual_unrollILi128ELi4EZNS0_22gpu_kernel_impl_nocastIZZZNS0_12_GLOBAL__N_130modified_bessel_i1_kernel_cudaERNS_18TensorIteratorBaseEENKUlvE_clEvENKUlvE0_clEvEUlfE_EEvS5_RKT_EUlibE_EEviT1_.kd
    .uniform_work_group_size: 1
    .uses_dynamic_stack: false
    .vgpr_count:     17
    .vgpr_spill_count: 0
    .wavefront_size: 64
  - .agpr_count:     0
    .args:
      - .offset:         0
        .size:           4
        .value_kind:     by_value
      - .offset:         8
        .size:           32
        .value_kind:     by_value
    .group_segment_fixed_size: 0
    .kernarg_segment_align: 8
    .kernarg_segment_size: 40
    .language:       OpenCL C
    .language_version:
      - 2
      - 0
    .max_flat_workgroup_size: 128
    .name:           _ZN2at6native32elementwise_kernel_manual_unrollILi128ELi4EZNS0_15gpu_kernel_implIZZZNS0_12_GLOBAL__N_130modified_bessel_i1_kernel_cudaERNS_18TensorIteratorBaseEENKUlvE_clEvENKUlvE0_clEvEUlfE_EEvS5_RKT_EUlibE_EEviT1_
    .private_segment_fixed_size: 0
    .sgpr_count:     50
    .sgpr_spill_count: 0
    .symbol:         _ZN2at6native32elementwise_kernel_manual_unrollILi128ELi4EZNS0_15gpu_kernel_implIZZZNS0_12_GLOBAL__N_130modified_bessel_i1_kernel_cudaERNS_18TensorIteratorBaseEENKUlvE_clEvENKUlvE0_clEvEUlfE_EEvS5_RKT_EUlibE_EEviT1_.kd
    .uniform_work_group_size: 1
    .uses_dynamic_stack: false
    .vgpr_count:     16
    .vgpr_spill_count: 0
    .wavefront_size: 64
  - .agpr_count:     0
    .args:
      - .offset:         0
        .size:           4
        .value_kind:     by_value
      - .offset:         8
        .size:           352
        .value_kind:     by_value
    .group_segment_fixed_size: 0
    .kernarg_segment_align: 8
    .kernarg_segment_size: 360
    .language:       OpenCL C
    .language_version:
      - 2
      - 0
    .max_flat_workgroup_size: 128
    .name:           _ZN2at6native32elementwise_kernel_manual_unrollILi128ELi4EZNS0_15gpu_kernel_implIZZZNS0_12_GLOBAL__N_130modified_bessel_i1_kernel_cudaERNS_18TensorIteratorBaseEENKUlvE_clEvENKUlvE0_clEvEUlfE_EEvS5_RKT_EUlibE0_EEviT1_
    .private_segment_fixed_size: 0
    .sgpr_count:     84
    .sgpr_spill_count: 0
    .symbol:         _ZN2at6native32elementwise_kernel_manual_unrollILi128ELi4EZNS0_15gpu_kernel_implIZZZNS0_12_GLOBAL__N_130modified_bessel_i1_kernel_cudaERNS_18TensorIteratorBaseEENKUlvE_clEvENKUlvE0_clEvEUlfE_EEvS5_RKT_EUlibE0_EEviT1_.kd
    .uniform_work_group_size: 1
    .uses_dynamic_stack: false
    .vgpr_count:     20
    .vgpr_spill_count: 0
    .wavefront_size: 64
amdhsa.target:   amdgcn-amd-amdhsa--gfx950
amdhsa.version:
  - 1
  - 2
...

	.end_amdgpu_metadata
